;; amdgpu-corpus repo=ROCm/rocFFT kind=compiled arch=gfx906 opt=O3
	.text
	.amdgcn_target "amdgcn-amd-amdhsa--gfx906"
	.amdhsa_code_object_version 6
	.protected	fft_rtc_back_len1088_factors_17_4_4_2_2_wgs_204_tpt_68_halfLds_dp_op_CI_CI_unitstride_sbrr_R2C_dirReg ; -- Begin function fft_rtc_back_len1088_factors_17_4_4_2_2_wgs_204_tpt_68_halfLds_dp_op_CI_CI_unitstride_sbrr_R2C_dirReg
	.globl	fft_rtc_back_len1088_factors_17_4_4_2_2_wgs_204_tpt_68_halfLds_dp_op_CI_CI_unitstride_sbrr_R2C_dirReg
	.p2align	8
	.type	fft_rtc_back_len1088_factors_17_4_4_2_2_wgs_204_tpt_68_halfLds_dp_op_CI_CI_unitstride_sbrr_R2C_dirReg,@function
fft_rtc_back_len1088_factors_17_4_4_2_2_wgs_204_tpt_68_halfLds_dp_op_CI_CI_unitstride_sbrr_R2C_dirReg: ; @fft_rtc_back_len1088_factors_17_4_4_2_2_wgs_204_tpt_68_halfLds_dp_op_CI_CI_unitstride_sbrr_R2C_dirReg
; %bb.0:
	s_load_dwordx4 s[8:11], s[4:5], 0x58
	s_load_dwordx4 s[12:15], s[4:5], 0x0
	;; [unrolled: 1-line block ×3, first 2 shown]
	v_mul_u32_u24_e32 v1, 0x3c4, v0
	v_lshrrev_b32_e32 v1, 16, v1
	v_mad_u64_u32 v[3:4], s[0:1], s6, 3, v[1:2]
	v_mov_b32_e32 v5, 0
	v_mov_b32_e32 v1, 0
	;; [unrolled: 1-line block ×3, first 2 shown]
	s_waitcnt lgkmcnt(0)
	v_cmp_lt_u64_e64 s[0:1], s[14:15], 2
	v_mov_b32_e32 v2, 0
	v_mov_b32_e32 v69, v2
	;; [unrolled: 1-line block ×3, first 2 shown]
	s_and_b64 vcc, exec, s[0:1]
	v_mov_b32_e32 v68, v1
	v_mov_b32_e32 v72, v3
	s_cbranch_vccnz .LBB0_8
; %bb.1:
	s_load_dwordx2 s[0:1], s[4:5], 0x10
	s_add_u32 s2, s18, 8
	s_addc_u32 s3, s19, 0
	s_add_u32 s6, s16, 8
	v_mov_b32_e32 v1, 0
	s_addc_u32 s7, s17, 0
	v_mov_b32_e32 v2, 0
	s_waitcnt lgkmcnt(0)
	s_add_u32 s20, s0, 8
	v_mov_b32_e32 v69, v2
	v_mov_b32_e32 v8, v4
	s_addc_u32 s21, s1, 0
	s_mov_b64 s[22:23], 1
	v_mov_b32_e32 v68, v1
	v_mov_b32_e32 v7, v3
.LBB0_2:                                ; =>This Inner Loop Header: Depth=1
	s_load_dwordx2 s[24:25], s[20:21], 0x0
                                        ; implicit-def: $vgpr72_vgpr73
	s_waitcnt lgkmcnt(0)
	v_or_b32_e32 v6, s25, v8
	v_cmp_ne_u64_e32 vcc, 0, v[5:6]
	s_and_saveexec_b64 s[0:1], vcc
	s_xor_b64 s[26:27], exec, s[0:1]
	s_cbranch_execz .LBB0_4
; %bb.3:                                ;   in Loop: Header=BB0_2 Depth=1
	v_cvt_f32_u32_e32 v4, s24
	v_cvt_f32_u32_e32 v6, s25
	s_sub_u32 s0, 0, s24
	s_subb_u32 s1, 0, s25
	v_mac_f32_e32 v4, 0x4f800000, v6
	v_rcp_f32_e32 v4, v4
	v_mul_f32_e32 v4, 0x5f7ffffc, v4
	v_mul_f32_e32 v6, 0x2f800000, v4
	v_trunc_f32_e32 v6, v6
	v_mac_f32_e32 v4, 0xcf800000, v6
	v_cvt_u32_f32_e32 v6, v6
	v_cvt_u32_f32_e32 v4, v4
	v_mul_lo_u32 v9, s0, v6
	v_mul_hi_u32 v10, s0, v4
	v_mul_lo_u32 v12, s1, v4
	v_mul_lo_u32 v11, s0, v4
	v_add_u32_e32 v9, v10, v9
	v_add_u32_e32 v9, v9, v12
	v_mul_hi_u32 v10, v4, v11
	v_mul_lo_u32 v12, v4, v9
	v_mul_hi_u32 v14, v4, v9
	v_mul_hi_u32 v13, v6, v11
	v_mul_lo_u32 v11, v6, v11
	v_mul_hi_u32 v15, v6, v9
	v_add_co_u32_e32 v10, vcc, v10, v12
	v_addc_co_u32_e32 v12, vcc, 0, v14, vcc
	v_mul_lo_u32 v9, v6, v9
	v_add_co_u32_e32 v10, vcc, v10, v11
	v_addc_co_u32_e32 v10, vcc, v12, v13, vcc
	v_addc_co_u32_e32 v11, vcc, 0, v15, vcc
	v_add_co_u32_e32 v9, vcc, v10, v9
	v_addc_co_u32_e32 v10, vcc, 0, v11, vcc
	v_add_co_u32_e32 v4, vcc, v4, v9
	v_addc_co_u32_e32 v6, vcc, v6, v10, vcc
	v_mul_lo_u32 v9, s0, v6
	v_mul_hi_u32 v10, s0, v4
	v_mul_lo_u32 v11, s1, v4
	v_mul_lo_u32 v12, s0, v4
	v_add_u32_e32 v9, v10, v9
	v_add_u32_e32 v9, v9, v11
	v_mul_lo_u32 v13, v4, v9
	v_mul_hi_u32 v14, v4, v12
	v_mul_hi_u32 v15, v4, v9
	;; [unrolled: 1-line block ×3, first 2 shown]
	v_mul_lo_u32 v12, v6, v12
	v_mul_hi_u32 v10, v6, v9
	v_add_co_u32_e32 v13, vcc, v14, v13
	v_addc_co_u32_e32 v14, vcc, 0, v15, vcc
	v_mul_lo_u32 v9, v6, v9
	v_add_co_u32_e32 v12, vcc, v13, v12
	v_addc_co_u32_e32 v11, vcc, v14, v11, vcc
	v_addc_co_u32_e32 v10, vcc, 0, v10, vcc
	v_add_co_u32_e32 v9, vcc, v11, v9
	v_addc_co_u32_e32 v10, vcc, 0, v10, vcc
	v_add_co_u32_e32 v4, vcc, v4, v9
	v_addc_co_u32_e32 v6, vcc, v6, v10, vcc
	v_mad_u64_u32 v[9:10], s[0:1], v7, v6, 0
	v_mul_hi_u32 v11, v7, v4
	v_add_co_u32_e32 v13, vcc, v11, v9
	v_addc_co_u32_e32 v14, vcc, 0, v10, vcc
	v_mad_u64_u32 v[9:10], s[0:1], v8, v4, 0
	v_mad_u64_u32 v[11:12], s[0:1], v8, v6, 0
	v_add_co_u32_e32 v4, vcc, v13, v9
	v_addc_co_u32_e32 v4, vcc, v14, v10, vcc
	v_addc_co_u32_e32 v6, vcc, 0, v12, vcc
	v_add_co_u32_e32 v4, vcc, v4, v11
	v_addc_co_u32_e32 v6, vcc, 0, v6, vcc
	v_mul_lo_u32 v11, s25, v4
	v_mul_lo_u32 v12, s24, v6
	v_mad_u64_u32 v[9:10], s[0:1], s24, v4, 0
	v_add3_u32 v10, v10, v12, v11
	v_sub_u32_e32 v11, v8, v10
	v_mov_b32_e32 v12, s25
	v_sub_co_u32_e32 v9, vcc, v7, v9
	v_subb_co_u32_e64 v11, s[0:1], v11, v12, vcc
	v_subrev_co_u32_e64 v12, s[0:1], s24, v9
	v_subbrev_co_u32_e64 v11, s[0:1], 0, v11, s[0:1]
	v_cmp_le_u32_e64 s[0:1], s25, v11
	v_cndmask_b32_e64 v13, 0, -1, s[0:1]
	v_cmp_le_u32_e64 s[0:1], s24, v12
	v_cndmask_b32_e64 v12, 0, -1, s[0:1]
	v_cmp_eq_u32_e64 s[0:1], s25, v11
	v_cndmask_b32_e64 v11, v13, v12, s[0:1]
	v_add_co_u32_e64 v12, s[0:1], 2, v4
	v_addc_co_u32_e64 v13, s[0:1], 0, v6, s[0:1]
	v_add_co_u32_e64 v14, s[0:1], 1, v4
	v_addc_co_u32_e64 v15, s[0:1], 0, v6, s[0:1]
	v_subb_co_u32_e32 v10, vcc, v8, v10, vcc
	v_cmp_ne_u32_e64 s[0:1], 0, v11
	v_cmp_le_u32_e32 vcc, s25, v10
	v_cndmask_b32_e64 v11, v15, v13, s[0:1]
	v_cndmask_b32_e64 v13, 0, -1, vcc
	v_cmp_le_u32_e32 vcc, s24, v9
	v_cndmask_b32_e64 v9, 0, -1, vcc
	v_cmp_eq_u32_e32 vcc, s25, v10
	v_cndmask_b32_e32 v9, v13, v9, vcc
	v_cmp_ne_u32_e32 vcc, 0, v9
	v_cndmask_b32_e32 v73, v6, v11, vcc
	v_cndmask_b32_e64 v6, v14, v12, s[0:1]
	v_cndmask_b32_e32 v72, v4, v6, vcc
.LBB0_4:                                ;   in Loop: Header=BB0_2 Depth=1
	s_andn2_saveexec_b64 s[0:1], s[26:27]
	s_cbranch_execz .LBB0_6
; %bb.5:                                ;   in Loop: Header=BB0_2 Depth=1
	v_cvt_f32_u32_e32 v4, s24
	s_sub_i32 s26, 0, s24
	v_mov_b32_e32 v73, v5
	v_rcp_iflag_f32_e32 v4, v4
	v_mul_f32_e32 v4, 0x4f7ffffe, v4
	v_cvt_u32_f32_e32 v4, v4
	v_mul_lo_u32 v6, s26, v4
	v_mul_hi_u32 v6, v4, v6
	v_add_u32_e32 v4, v4, v6
	v_mul_hi_u32 v4, v7, v4
	v_mul_lo_u32 v6, v4, s24
	v_add_u32_e32 v9, 1, v4
	v_sub_u32_e32 v6, v7, v6
	v_subrev_u32_e32 v10, s24, v6
	v_cmp_le_u32_e32 vcc, s24, v6
	v_cndmask_b32_e32 v6, v6, v10, vcc
	v_cndmask_b32_e32 v4, v4, v9, vcc
	v_add_u32_e32 v9, 1, v4
	v_cmp_le_u32_e32 vcc, s24, v6
	v_cndmask_b32_e32 v72, v4, v9, vcc
.LBB0_6:                                ;   in Loop: Header=BB0_2 Depth=1
	s_or_b64 exec, exec, s[0:1]
	v_mul_lo_u32 v4, v73, s24
	v_mul_lo_u32 v6, v72, s25
	v_mad_u64_u32 v[9:10], s[0:1], v72, s24, 0
	s_load_dwordx2 s[0:1], s[6:7], 0x0
	s_load_dwordx2 s[24:25], s[2:3], 0x0
	v_add3_u32 v4, v10, v6, v4
	v_sub_co_u32_e32 v6, vcc, v7, v9
	v_subb_co_u32_e32 v4, vcc, v8, v4, vcc
	s_waitcnt lgkmcnt(0)
	v_mul_lo_u32 v7, s0, v4
	v_mul_lo_u32 v8, s1, v6
	v_mad_u64_u32 v[1:2], s[0:1], s0, v6, v[1:2]
	s_add_u32 s22, s22, 1
	s_addc_u32 s23, s23, 0
	s_add_u32 s2, s2, 8
	v_mul_lo_u32 v4, s24, v4
	v_mul_lo_u32 v9, s25, v6
	v_mad_u64_u32 v[68:69], s[0:1], s24, v6, v[68:69]
	v_add3_u32 v2, v8, v2, v7
	s_addc_u32 s3, s3, 0
	v_mov_b32_e32 v6, s14
	s_add_u32 s6, s6, 8
	v_mov_b32_e32 v7, s15
	s_addc_u32 s7, s7, 0
	v_cmp_ge_u64_e32 vcc, s[22:23], v[6:7]
	s_add_u32 s20, s20, 8
	v_add3_u32 v69, v9, v69, v4
	s_addc_u32 s21, s21, 0
	s_cbranch_vccnz .LBB0_8
; %bb.7:                                ;   in Loop: Header=BB0_2 Depth=1
	v_mov_b32_e32 v7, v72
	v_mov_b32_e32 v8, v73
	s_branch .LBB0_2
.LBB0_8:
	s_mov_b32 s0, 0xaaaaaaab
	s_load_dwordx2 s[4:5], s[4:5], 0x28
	v_mul_hi_u32 v4, v3, s0
	s_lshl_b64 s[6:7], s[14:15], 3
	s_add_u32 s2, s18, s6
	s_addc_u32 s3, s19, s7
	v_lshrrev_b32_e32 v4, 1, v4
	v_lshl_add_u32 v4, v4, 1, v4
	s_waitcnt lgkmcnt(0)
	v_cmp_gt_u64_e64 s[0:1], s[4:5], v[72:73]
	v_cmp_le_u64_e32 vcc, s[4:5], v[72:73]
	v_sub_u32_e32 v3, v3, v4
                                        ; implicit-def: $vgpr70
	s_and_saveexec_b64 s[4:5], vcc
	s_xor_b64 s[4:5], exec, s[4:5]
; %bb.9:
	s_mov_b32 s14, 0x3c3c3c4
	v_mul_hi_u32 v1, v0, s14
	v_mul_u32_u24_e32 v1, 0x44, v1
	v_sub_u32_e32 v70, v0, v1
                                        ; implicit-def: $vgpr0
                                        ; implicit-def: $vgpr1_vgpr2
; %bb.10:
	s_or_saveexec_b64 s[4:5], s[4:5]
	v_mul_u32_u24_e32 v3, 0x441, v3
	v_lshlrev_b32_e32 v71, 4, v3
	s_xor_b64 exec, exec, s[4:5]
	s_cbranch_execz .LBB0_12
; %bb.11:
	s_add_u32 s6, s16, s6
	s_addc_u32 s7, s17, s7
	s_load_dwordx2 s[6:7], s[6:7], 0x0
	s_mov_b32 s14, 0x3c3c3c4
	v_mul_hi_u32 v5, v0, s14
	s_waitcnt lgkmcnt(0)
	v_mul_lo_u32 v6, s7, v72
	v_mul_lo_u32 v7, s6, v73
	v_mad_u64_u32 v[3:4], s[6:7], s6, v72, 0
	v_mul_u32_u24_e32 v5, 0x44, v5
	v_sub_u32_e32 v70, v0, v5
	v_add3_u32 v4, v4, v7, v6
	v_lshlrev_b64 v[3:4], 4, v[3:4]
	v_mov_b32_e32 v0, s9
	v_add_co_u32_e32 v3, vcc, s8, v3
	v_addc_co_u32_e32 v4, vcc, v0, v4, vcc
	v_lshlrev_b64 v[0:1], 4, v[1:2]
	v_lshlrev_b32_e32 v74, 4, v70
	v_add_co_u32_e32 v0, vcc, v3, v0
	v_addc_co_u32_e32 v1, vcc, v4, v1, vcc
	v_add_co_u32_e32 v40, vcc, v0, v74
	v_addc_co_u32_e32 v41, vcc, 0, v1, vcc
	s_movk_i32 s6, 0x1000
	v_add_co_u32_e32 v32, vcc, s6, v40
	v_addc_co_u32_e32 v33, vcc, 0, v41, vcc
	s_movk_i32 s6, 0x2000
	v_add_co_u32_e32 v64, vcc, s6, v40
	v_addc_co_u32_e32 v65, vcc, 0, v41, vcc
	v_add_co_u32_e32 v66, vcc, 0x3000, v40
	global_load_dwordx4 v[0:3], v[40:41], off
	global_load_dwordx4 v[4:7], v[40:41], off offset:1088
	global_load_dwordx4 v[8:11], v[40:41], off offset:2176
	;; [unrolled: 1-line block ×7, first 2 shown]
	s_nop 0
	global_load_dwordx4 v[32:35], v[64:65], off offset:512
	global_load_dwordx4 v[36:39], v[64:65], off offset:1600
	v_addc_co_u32_e32 v67, vcc, 0, v41, vcc
	global_load_dwordx4 v[40:43], v[64:65], off offset:2688
	global_load_dwordx4 v[44:47], v[64:65], off offset:3776
	global_load_dwordx4 v[48:51], v[66:67], off offset:768
	global_load_dwordx4 v[52:55], v[66:67], off offset:1856
	global_load_dwordx4 v[56:59], v[66:67], off offset:2944
	global_load_dwordx4 v[60:63], v[66:67], off offset:4032
	v_add3_u32 v64, 0, v71, v74
	s_waitcnt vmcnt(15)
	ds_write_b128 v64, v[0:3]
	s_waitcnt vmcnt(14)
	ds_write_b128 v64, v[4:7] offset:1088
	s_waitcnt vmcnt(13)
	ds_write_b128 v64, v[8:11] offset:2176
	;; [unrolled: 2-line block ×15, first 2 shown]
.LBB0_12:
	s_or_b64 exec, exec, s[4:5]
	v_add_u32_e32 v114, 0, v71
	v_lshlrev_b32_e32 v116, 4, v70
	v_add_u32_e32 v115, v114, v116
	v_add_u32_e32 v0, 0, v116
	s_waitcnt lgkmcnt(0)
	s_barrier
	v_add_u32_e32 v117, v0, v71
	ds_read_b128 v[0:3], v115
	ds_read_b128 v[44:47], v117 offset:1024
	ds_read_b128 v[48:51], v117 offset:2048
	;; [unrolled: 1-line block ×16, first 2 shown]
	v_cmp_gt_u32_e32 vcc, 64, v70
	s_waitcnt lgkmcnt(0)
	s_barrier
	s_and_saveexec_b64 s[4:5], vcc
	s_cbranch_execz .LBB0_14
; %bb.13:
	v_add_f64 v[78:79], v[2:3], v[46:47]
	v_add_f64 v[80:81], v[0:1], v[44:45]
	;; [unrolled: 1-line block ×3, first 2 shown]
	v_add_f64 v[100:101], v[54:55], -v[34:35]
	v_add_f64 v[96:97], v[8:9], -v[12:13]
	s_mov_b32 s14, 0xacd6c6b4
	s_mov_b32 s15, 0xbfc7851a
	v_add_f64 v[82:83], v[40:41], -v[36:37]
	v_add_f64 v[86:87], v[78:79], v[50:51]
	v_add_f64 v[90:91], v[80:81], v[48:49]
	;; [unrolled: 1-line block ×5, first 2 shown]
	v_add_f64 v[84:85], v[42:43], -v[38:39]
	v_add_f64 v[98:99], v[52:53], -v[32:33]
	v_add_f64 v[92:93], v[62:63], v[30:31]
	v_add_f64 v[94:95], v[86:87], v[58:59]
	;; [unrolled: 1-line block ×4, first 2 shown]
	v_add_f64 v[102:103], v[62:63], -v[30:31]
	s_mov_b32 s6, 0x7faef3
	s_mov_b32 s18, 0x5d8e7cdc
	s_mov_b32 s7, 0xbfef7484
	s_mov_b32 s19, 0x3fd71e95
	v_add_f64 v[112:113], v[94:95], v[66:67]
	v_add_f64 v[118:119], v[106:107], v[64:65]
	v_add_f64 v[104:105], v[60:61], -v[28:29]
	v_add_f64 v[90:91], v[60:61], v[28:29]
	v_add_f64 v[94:95], v[66:67], v[26:27]
	v_add_f64 v[106:107], v[66:67], -v[26:27]
	v_add_f64 v[110:111], v[56:57], -v[20:21]
	v_add_f64 v[66:67], v[58:59], v[22:23]
	v_add_f64 v[112:113], v[112:113], v[62:63]
	;; [unrolled: 1-line block ×3, first 2 shown]
	v_add_f64 v[62:63], v[48:49], -v[16:17]
	v_add_f64 v[60:61], v[58:59], -v[22:23]
	v_add_f64 v[58:59], v[50:51], v[18:19]
	s_mov_b32 s8, 0x370991
	s_mov_b32 s24, 0x4363dd80
	;; [unrolled: 1-line block ×3, first 2 shown]
	v_add_f64 v[54:55], v[112:113], v[54:55]
	v_add_f64 v[118:119], v[118:119], v[52:53]
	v_add_f64 v[112:113], v[44:45], -v[4:5]
	v_add_f64 v[52:53], v[46:47], v[6:7]
	s_mov_b32 s25, 0xbfe0d888
	v_add_f64 v[108:109], v[64:65], -v[24:25]
	v_add_f64 v[46:47], v[46:47], -v[6:7]
	s_mov_b32 s16, 0x910ea3b9
	v_add_f64 v[54:55], v[54:55], v[10:11]
	v_add_f64 v[8:9], v[118:119], v[8:9]
	s_mov_b32 s42, 0x2a9d6da3
	s_mov_b32 s17, 0xbfeb34fa
	s_mov_b32 s43, 0x3fe58eea
	v_add_f64 v[50:51], v[50:51], -v[18:19]
	v_add_f64 v[44:45], v[44:45], v[4:5]
	v_mul_f64 v[118:119], v[46:47], s[14:15]
	v_add_f64 v[42:43], v[54:55], v[42:43]
	v_add_f64 v[8:9], v[8:9], v[40:41]
	v_mul_f64 v[40:41], v[112:113], s[14:15]
	s_mov_b32 s22, 0x75d4884
	s_mov_b32 s28, 0x6c9a05f6
	;; [unrolled: 1-line block ×4, first 2 shown]
	v_add_f64 v[48:49], v[48:49], v[16:17]
	v_add_f64 v[38:39], v[42:43], v[38:39]
	;; [unrolled: 1-line block ×3, first 2 shown]
	v_mul_f64 v[36:37], v[62:63], s[18:19]
	v_fma_f64 v[42:43], v[52:53], s[6:7], v[40:41]
	s_mov_b32 s20, 0x6ed5f1bb
	s_mov_b32 s34, 0x7c9e640b
	;; [unrolled: 1-line block ×4, first 2 shown]
	v_add_f64 v[38:39], v[38:39], v[14:15]
	v_add_f64 v[8:9], v[8:9], v[12:13]
	v_mul_f64 v[12:13], v[110:111], s[24:25]
	v_fma_f64 v[54:55], v[58:59], s[8:9], v[36:37]
	v_add_f64 v[42:43], v[2:3], v[42:43]
	v_add_f64 v[64:65], v[64:65], v[24:25]
	;; [unrolled: 1-line block ×3, first 2 shown]
	s_mov_b32 s26, 0x2b2883cd
	v_add_f64 v[34:35], v[38:39], v[34:35]
	v_add_f64 v[8:9], v[8:9], v[32:33]
	v_mul_f64 v[32:33], v[108:109], s[42:43]
	v_fma_f64 v[120:121], v[66:67], s[16:17], v[12:13]
	v_add_f64 v[42:43], v[54:55], v[42:43]
	v_mul_f64 v[38:39], v[50:51], s[18:19]
	v_fma_f64 v[54:55], v[44:45], s[6:7], -v[118:119]
	s_mov_b32 s27, 0x3fdc86fa
	v_add_f64 v[30:31], v[34:35], v[30:31]
	v_add_f64 v[8:9], v[8:9], v[28:29]
	v_mul_f64 v[28:29], v[104:105], s[28:29]
	v_fma_f64 v[122:123], v[94:95], s[22:23], v[32:33]
	v_add_f64 v[42:43], v[120:121], v[42:43]
	v_mul_f64 v[34:35], v[60:61], s[24:25]
	v_fma_f64 v[124:125], v[48:49], s[8:9], -v[38:39]
	v_add_f64 v[54:55], v[0:1], v[54:55]
	v_add_f64 v[26:27], v[30:31], v[26:27]
	;; [unrolled: 1-line block ×3, first 2 shown]
	v_mul_f64 v[24:25], v[98:99], s[34:35]
	v_fma_f64 v[120:121], v[92:93], s[20:21], v[28:29]
	v_add_f64 v[42:43], v[122:123], v[42:43]
	v_mul_f64 v[30:31], v[106:107], s[42:43]
	v_fma_f64 v[126:127], v[56:57], s[16:17], -v[34:35]
	v_add_f64 v[54:55], v[124:125], v[54:55]
	v_add_f64 v[22:23], v[26:27], v[22:23]
	;; [unrolled: 1-line block ×3, first 2 shown]
	v_fma_f64 v[26:27], v[88:89], s[26:27], v[24:25]
	s_mov_b32 s38, 0x923c349f
	v_add_f64 v[42:43], v[120:121], v[42:43]
	s_mov_b32 s39, 0xbfeec746
	v_add_f64 v[80:81], v[10:11], v[14:15]
	v_mul_f64 v[20:21], v[102:103], s[28:29]
	v_fma_f64 v[120:121], v[64:65], s[22:23], -v[30:31]
	v_add_f64 v[54:55], v[126:127], v[54:55]
	v_add_f64 v[18:19], v[22:23], v[18:19]
	;; [unrolled: 1-line block ×3, first 2 shown]
	v_mul_f64 v[16:17], v[96:97], s[38:39]
	v_add_f64 v[22:23], v[26:27], v[42:43]
	v_fma_f64 v[26:27], v[52:53], s[6:7], -v[40:41]
	s_mov_b32 s30, 0xc61f0d01
	s_mov_b32 s31, 0xbfd183b1
	v_add_f64 v[40:41], v[120:121], v[54:55]
	v_fma_f64 v[42:43], v[90:91], s[20:21], -v[20:21]
	v_mul_f64 v[120:121], v[100:101], s[34:35]
	v_fma_f64 v[122:123], v[80:81], s[30:31], v[16:17]
	v_fma_f64 v[36:37], v[58:59], s[8:9], -v[36:37]
	v_add_f64 v[26:27], v[2:3], v[26:27]
	v_add_f64 v[54:55], v[10:11], -v[14:15]
	v_fma_f64 v[14:15], v[44:45], s[6:7], v[118:119]
	v_add_f64 v[6:7], v[18:19], v[6:7]
	v_add_f64 v[10:11], v[42:43], v[40:41]
	v_fma_f64 v[40:41], v[86:87], s[26:27], -v[120:121]
	v_add_f64 v[4:5], v[8:9], v[4:5]
	v_add_f64 v[8:9], v[122:123], v[22:23]
	;; [unrolled: 1-line block ×3, first 2 shown]
	v_fma_f64 v[12:13], v[66:67], s[16:17], -v[12:13]
	v_fma_f64 v[22:23], v[48:49], s[8:9], v[38:39]
	v_add_f64 v[14:15], v[0:1], v[14:15]
	v_mul_f64 v[26:27], v[54:55], s[38:39]
	s_mov_b32 s56, 0xeb564b22
	s_mov_b32 s57, 0x3fefdd0d
	v_add_f64 v[10:11], v[40:41], v[10:11]
	v_mul_f64 v[36:37], v[82:83], s[56:57]
	v_add_f64 v[12:13], v[12:13], v[18:19]
	v_mul_f64 v[18:19], v[112:113], s[24:25]
	v_fma_f64 v[32:33], v[94:95], s[22:23], -v[32:33]
	v_add_f64 v[14:15], v[22:23], v[14:15]
	v_fma_f64 v[22:23], v[56:57], s[16:17], v[34:35]
	v_fma_f64 v[34:35], v[78:79], s[30:31], -v[26:27]
	s_mov_b32 s36, 0x3259b75e
	s_mov_b32 s37, 0x3fb79ee6
	v_fma_f64 v[38:39], v[76:77], s[36:37], v[36:37]
	v_fma_f64 v[40:41], v[52:53], s[16:17], v[18:19]
	v_mul_f64 v[42:43], v[62:63], s[34:35]
	v_add_f64 v[12:13], v[32:33], v[12:13]
	v_fma_f64 v[28:29], v[92:93], s[20:21], -v[28:29]
	v_add_f64 v[14:15], v[22:23], v[14:15]
	v_fma_f64 v[22:23], v[64:65], s[22:23], v[30:31]
	v_add_f64 v[30:31], v[34:35], v[10:11]
	v_mul_f64 v[34:35], v[46:47], s[24:25]
	s_mov_b32 s41, 0xbfefdd0d
	s_mov_b32 s40, s56
	v_add_f64 v[10:11], v[38:39], v[8:9]
	v_add_f64 v[8:9], v[2:3], v[40:41]
	v_fma_f64 v[32:33], v[58:59], s[26:27], v[42:43]
	v_mul_f64 v[38:39], v[110:111], s[40:41]
	v_add_f64 v[12:13], v[28:29], v[12:13]
	v_add_f64 v[14:15], v[22:23], v[14:15]
	v_fma_f64 v[22:23], v[44:45], s[16:17], -v[34:35]
	v_mul_f64 v[28:29], v[50:51], s[34:35]
	s_mov_b32 s51, 0x3fe9895b
	s_mov_b32 s50, s28
	v_fma_f64 v[24:25], v[88:89], s[26:27], -v[24:25]
	v_add_f64 v[8:9], v[32:33], v[8:9]
	v_fma_f64 v[32:33], v[66:67], s[36:37], v[38:39]
	v_mul_f64 v[118:119], v[108:109], s[50:51]
	v_add_f64 v[22:23], v[0:1], v[22:23]
	v_fma_f64 v[124:125], v[48:49], s[26:27], -v[28:29]
	v_mul_f64 v[126:127], v[60:61], s[40:41]
	s_mov_b32 s45, 0xbfd71e95
	s_mov_b32 s44, s18
	v_mul_f64 v[40:41], v[84:85], s[56:57]
	v_fma_f64 v[20:21], v[90:91], s[20:21], v[20:21]
	v_add_f64 v[12:13], v[24:25], v[12:13]
	v_add_f64 v[8:9], v[32:33], v[8:9]
	v_fma_f64 v[24:25], v[94:95], s[20:21], v[118:119]
	v_mul_f64 v[32:33], v[104:105], s[44:45]
	v_add_f64 v[22:23], v[124:125], v[22:23]
	v_fma_f64 v[124:125], v[56:57], s[36:37], -v[126:127]
	v_mul_f64 v[128:129], v[106:107], s[50:51]
	v_fma_f64 v[122:123], v[74:75], s[36:37], -v[40:41]
	v_add_f64 v[14:15], v[20:21], v[14:15]
	v_fma_f64 v[20:21], v[86:87], s[26:27], v[120:121]
	v_add_f64 v[24:25], v[24:25], v[8:9]
	v_fma_f64 v[120:121], v[92:93], s[8:9], v[32:33]
	v_mul_f64 v[130:131], v[98:99], s[14:15]
	v_add_f64 v[22:23], v[124:125], v[22:23]
	v_fma_f64 v[124:125], v[64:65], s[20:21], -v[128:129]
	v_mul_f64 v[132:133], v[102:103], s[44:45]
	v_fma_f64 v[16:17], v[80:81], s[30:31], -v[16:17]
	v_add_f64 v[8:9], v[122:123], v[30:31]
	v_add_f64 v[14:15], v[20:21], v[14:15]
	v_fma_f64 v[20:21], v[78:79], s[30:31], v[26:27]
	v_add_f64 v[24:25], v[120:121], v[24:25]
	v_fma_f64 v[26:27], v[88:89], s[6:7], v[130:131]
	v_mul_f64 v[30:31], v[96:97], s[42:43]
	v_add_f64 v[22:23], v[124:125], v[22:23]
	v_fma_f64 v[120:121], v[90:91], s[8:9], -v[132:133]
	v_mul_f64 v[122:123], v[100:101], s[14:15]
	v_fma_f64 v[18:19], v[52:53], s[16:17], -v[18:19]
	v_add_f64 v[12:13], v[16:17], v[12:13]
	v_add_f64 v[14:15], v[20:21], v[14:15]
	v_fma_f64 v[16:17], v[76:77], s[36:37], -v[36:37]
	v_add_f64 v[20:21], v[26:27], v[24:25]
	v_fma_f64 v[24:25], v[80:81], s[22:23], v[30:31]
	v_add_f64 v[22:23], v[120:121], v[22:23]
	v_fma_f64 v[26:27], v[86:87], s[6:7], -v[122:123]
	v_mul_f64 v[36:37], v[54:55], s[42:43]
	v_mul_f64 v[120:121], v[82:83], s[38:39]
	v_fma_f64 v[42:43], v[58:59], s[26:27], -v[42:43]
	v_fma_f64 v[34:35], v[44:45], s[16:17], v[34:35]
	v_add_f64 v[124:125], v[2:3], v[18:19]
	v_fma_f64 v[40:41], v[74:75], s[36:37], v[40:41]
	v_add_f64 v[20:21], v[24:25], v[20:21]
	v_add_f64 v[22:23], v[26:27], v[22:23]
	v_fma_f64 v[24:25], v[78:79], s[22:23], -v[36:37]
	v_fma_f64 v[26:27], v[76:77], s[30:31], v[120:121]
	v_add_f64 v[18:19], v[16:17], v[12:13]
	v_fma_f64 v[12:13], v[48:49], s[26:27], v[28:29]
	v_add_f64 v[28:29], v[0:1], v[34:35]
	v_add_f64 v[34:35], v[42:43], v[124:125]
	v_fma_f64 v[38:39], v[66:67], s[36:37], -v[38:39]
	v_add_f64 v[16:17], v[40:41], v[14:15]
	v_add_f64 v[22:23], v[24:25], v[22:23]
	;; [unrolled: 1-line block ×3, first 2 shown]
	v_mul_f64 v[20:21], v[112:113], s[28:29]
	v_mul_f64 v[24:25], v[84:85], s[38:39]
	v_add_f64 v[12:13], v[12:13], v[28:29]
	v_fma_f64 v[26:27], v[56:57], s[36:37], v[126:127]
	v_add_f64 v[28:29], v[38:39], v[34:35]
	v_fma_f64 v[34:35], v[94:95], s[20:21], -v[118:119]
	s_mov_b32 s47, 0x3feec746
	s_mov_b32 s46, s38
	v_fma_f64 v[38:39], v[52:53], s[20:21], v[20:21]
	v_mul_f64 v[40:41], v[62:63], s[46:47]
	v_fma_f64 v[42:43], v[74:75], s[30:31], -v[24:25]
	v_add_f64 v[26:27], v[26:27], v[12:13]
	v_fma_f64 v[118:119], v[64:65], s[20:21], v[128:129]
	v_add_f64 v[28:29], v[34:35], v[28:29]
	v_fma_f64 v[32:33], v[92:93], s[8:9], -v[32:33]
	v_mul_f64 v[34:35], v[46:47], s[28:29]
	v_add_f64 v[38:39], v[2:3], v[38:39]
	v_fma_f64 v[124:125], v[58:59], s[30:31], v[40:41]
	v_mul_f64 v[126:127], v[110:111], s[44:45]
	v_add_f64 v[12:13], v[42:43], v[22:23]
	v_add_f64 v[22:23], v[118:119], v[26:27]
	v_fma_f64 v[26:27], v[90:91], s[8:9], v[132:133]
	v_add_f64 v[28:29], v[32:33], v[28:29]
	v_fma_f64 v[32:33], v[44:45], s[20:21], -v[34:35]
	v_mul_f64 v[42:43], v[50:51], s[46:47]
	v_add_f64 v[38:39], v[124:125], v[38:39]
	v_fma_f64 v[118:119], v[66:67], s[8:9], v[126:127]
	v_mul_f64 v[124:125], v[108:109], s[24:25]
	v_fma_f64 v[128:129], v[88:89], s[6:7], -v[130:131]
	v_add_f64 v[22:23], v[26:27], v[22:23]
	v_fma_f64 v[26:27], v[86:87], s[6:7], v[122:123]
	v_add_f64 v[32:33], v[0:1], v[32:33]
	v_fma_f64 v[122:123], v[48:49], s[30:31], -v[42:43]
	v_mul_f64 v[130:131], v[60:61], s[44:45]
	v_add_f64 v[38:39], v[118:119], v[38:39]
	v_fma_f64 v[118:119], v[94:95], s[16:17], v[124:125]
	v_mul_f64 v[132:133], v[104:105], s[56:57]
	s_mov_b32 s49, 0xbfe58eea
	v_add_f64 v[22:23], v[26:27], v[22:23]
	s_mov_b32 s48, s42
	v_add_f64 v[26:27], v[122:123], v[32:33]
	v_fma_f64 v[32:33], v[56:57], s[8:9], -v[130:131]
	v_mul_f64 v[122:123], v[106:107], s[24:25]
	v_add_f64 v[28:29], v[128:129], v[28:29]
	v_fma_f64 v[30:31], v[80:81], s[22:23], -v[30:31]
	v_fma_f64 v[36:37], v[78:79], s[22:23], v[36:37]
	v_add_f64 v[38:39], v[118:119], v[38:39]
	v_fma_f64 v[118:119], v[92:93], s[36:37], v[132:133]
	v_mul_f64 v[128:129], v[98:99], s[48:49]
	v_add_f64 v[26:27], v[32:33], v[26:27]
	v_fma_f64 v[32:33], v[64:65], s[16:17], -v[122:123]
	v_mul_f64 v[134:135], v[102:103], s[56:57]
	v_fma_f64 v[20:21], v[52:53], s[20:21], -v[20:21]
	v_add_f64 v[28:29], v[30:31], v[28:29]
	v_add_f64 v[30:31], v[36:37], v[22:23]
	v_fma_f64 v[22:23], v[76:77], s[30:31], -v[120:121]
	v_add_f64 v[36:37], v[118:119], v[38:39]
	v_mul_f64 v[38:39], v[100:101], s[48:49]
	v_add_f64 v[26:27], v[32:33], v[26:27]
	v_fma_f64 v[32:33], v[90:91], s[36:37], -v[134:135]
	v_fma_f64 v[40:41], v[58:59], s[30:31], -v[40:41]
	v_add_f64 v[20:21], v[2:3], v[20:21]
	v_fma_f64 v[118:119], v[88:89], s[22:23], v[128:129]
	v_mul_f64 v[120:121], v[96:97], s[14:15]
	v_fma_f64 v[34:35], v[44:45], s[20:21], v[34:35]
	v_fma_f64 v[24:25], v[74:75], s[30:31], v[24:25]
	v_add_f64 v[22:23], v[22:23], v[28:29]
	v_add_f64 v[26:27], v[32:33], v[26:27]
	v_fma_f64 v[28:29], v[86:87], s[22:23], -v[38:39]
	v_mul_f64 v[32:33], v[54:55], s[14:15]
	v_add_f64 v[20:21], v[40:41], v[20:21]
	v_fma_f64 v[40:41], v[66:67], s[8:9], -v[126:127]
	v_fma_f64 v[42:43], v[48:49], s[30:31], v[42:43]
	v_add_f64 v[34:35], v[0:1], v[34:35]
	v_add_f64 v[36:37], v[118:119], v[36:37]
	v_fma_f64 v[118:119], v[80:81], s[6:7], v[120:121]
	v_add_f64 v[26:27], v[28:29], v[26:27]
	v_fma_f64 v[28:29], v[78:79], s[6:7], -v[32:33]
	v_mul_f64 v[126:127], v[82:83], s[34:35]
	v_add_f64 v[40:41], v[40:41], v[20:21]
	v_fma_f64 v[124:125], v[94:95], s[16:17], -v[124:125]
	v_add_f64 v[34:35], v[42:43], v[34:35]
	v_fma_f64 v[42:43], v[56:57], s[8:9], v[130:131]
	v_add_f64 v[20:21], v[24:25], v[30:31]
	v_add_f64 v[24:25], v[118:119], v[36:37]
	v_mul_f64 v[36:37], v[112:113], s[38:39]
	s_mov_b32 s53, 0x3fe0d888
	s_mov_b32 s52, s24
	v_add_f64 v[28:29], v[28:29], v[26:27]
	v_fma_f64 v[26:27], v[76:77], s[26:27], v[126:127]
	v_add_f64 v[30:31], v[124:125], v[40:41]
	v_add_f64 v[34:35], v[42:43], v[34:35]
	v_fma_f64 v[42:43], v[64:65], s[16:17], v[122:123]
	v_fma_f64 v[122:123], v[52:53], s[30:31], v[36:37]
	v_mul_f64 v[124:125], v[62:63], s[52:53]
	v_fma_f64 v[40:41], v[92:93], s[36:37], -v[132:133]
	v_mul_f64 v[130:131], v[110:111], s[42:43]
	v_add_f64 v[26:27], v[26:27], v[24:25]
	s_mov_b32 s55, 0xbfeca52d
	s_mov_b32 s54, s34
	v_add_f64 v[34:35], v[42:43], v[34:35]
	v_fma_f64 v[42:43], v[90:91], s[36:37], v[134:135]
	v_add_f64 v[24:25], v[2:3], v[122:123]
	v_fma_f64 v[122:123], v[58:59], s[16:17], v[124:125]
	v_add_f64 v[30:31], v[40:41], v[30:31]
	v_fma_f64 v[40:41], v[88:89], s[22:23], -v[128:129]
	v_mul_f64 v[128:129], v[46:47], s[38:39]
	v_fma_f64 v[38:39], v[86:87], s[22:23], v[38:39]
	v_mul_f64 v[134:135], v[108:109], s[54:55]
	v_add_f64 v[34:35], v[42:43], v[34:35]
	v_mul_f64 v[118:119], v[84:85], s[34:35]
	v_add_f64 v[24:25], v[122:123], v[24:25]
	v_fma_f64 v[122:123], v[66:67], s[22:23], v[130:131]
	v_add_f64 v[30:31], v[40:41], v[30:31]
	v_fma_f64 v[40:41], v[44:45], s[30:31], -v[128:129]
	v_mul_f64 v[42:43], v[50:51], s[52:53]
	v_fma_f64 v[120:121], v[80:81], s[6:7], -v[120:121]
	v_add_f64 v[34:35], v[38:39], v[34:35]
	v_fma_f64 v[32:33], v[78:79], s[6:7], v[32:33]
	v_fma_f64 v[38:39], v[94:95], s[26:27], v[134:135]
	v_add_f64 v[24:25], v[122:123], v[24:25]
	v_mul_f64 v[122:123], v[104:105], s[14:15]
	v_fma_f64 v[132:133], v[74:75], s[26:27], -v[118:119]
	v_add_f64 v[40:41], v[0:1], v[40:41]
	v_fma_f64 v[136:137], v[48:49], s[16:17], -v[42:43]
	v_mul_f64 v[138:139], v[60:61], s[42:43]
	v_add_f64 v[30:31], v[120:121], v[30:31]
	v_add_f64 v[32:33], v[32:33], v[34:35]
	v_fma_f64 v[34:35], v[76:77], s[26:27], -v[126:127]
	v_fma_f64 v[118:119], v[74:75], s[26:27], v[118:119]
	v_add_f64 v[38:39], v[38:39], v[24:25]
	v_fma_f64 v[120:121], v[92:93], s[6:7], v[122:123]
	v_add_f64 v[40:41], v[136:137], v[40:41]
	v_fma_f64 v[136:137], v[56:57], s[22:23], -v[138:139]
	v_mul_f64 v[140:141], v[106:107], s[54:55]
	v_add_f64 v[24:25], v[132:133], v[28:29]
	v_add_f64 v[30:31], v[34:35], v[30:31]
	;; [unrolled: 1-line block ×3, first 2 shown]
	v_fma_f64 v[34:35], v[52:53], s[30:31], -v[36:37]
	v_add_f64 v[32:33], v[120:121], v[38:39]
	v_fma_f64 v[38:39], v[44:45], s[30:31], v[128:129]
	v_add_f64 v[40:41], v[136:137], v[40:41]
	v_fma_f64 v[126:127], v[64:65], s[26:27], -v[140:141]
	v_mul_f64 v[132:133], v[102:103], s[14:15]
	v_mul_f64 v[136:137], v[98:99], s[56:57]
	v_fma_f64 v[124:125], v[58:59], s[16:17], -v[124:125]
	v_add_f64 v[34:35], v[2:3], v[34:35]
	v_fma_f64 v[42:43], v[48:49], s[16:17], v[42:43]
	v_add_f64 v[38:39], v[0:1], v[38:39]
	v_mul_f64 v[118:119], v[100:101], s[56:57]
	v_add_f64 v[36:37], v[126:127], v[40:41]
	v_fma_f64 v[40:41], v[90:91], s[6:7], -v[132:133]
	v_fma_f64 v[120:121], v[88:89], s[36:37], v[136:137]
	v_mul_f64 v[126:127], v[96:97], s[44:45]
	v_add_f64 v[34:35], v[124:125], v[34:35]
	v_fma_f64 v[124:125], v[66:67], s[22:23], -v[130:131]
	v_add_f64 v[38:39], v[42:43], v[38:39]
	v_fma_f64 v[42:43], v[56:57], s[22:23], v[138:139]
	v_mul_f64 v[128:129], v[54:55], s[44:45]
	v_add_f64 v[36:37], v[40:41], v[36:37]
	v_fma_f64 v[40:41], v[86:87], s[36:37], -v[118:119]
	v_add_f64 v[32:33], v[120:121], v[32:33]
	v_fma_f64 v[120:121], v[80:81], s[8:9], v[126:127]
	v_add_f64 v[34:35], v[124:125], v[34:35]
	v_fma_f64 v[124:125], v[94:95], s[26:27], -v[134:135]
	v_add_f64 v[38:39], v[42:43], v[38:39]
	v_fma_f64 v[42:43], v[64:65], s[26:27], v[140:141]
	v_mul_f64 v[130:131], v[82:83], s[28:29]
	v_add_f64 v[36:37], v[40:41], v[36:37]
	v_fma_f64 v[40:41], v[78:79], s[8:9], -v[128:129]
	v_add_f64 v[32:33], v[120:121], v[32:33]
	v_mul_f64 v[120:121], v[112:113], s[40:41]
	v_add_f64 v[124:125], v[124:125], v[34:35]
	v_fma_f64 v[122:123], v[92:93], s[6:7], -v[122:123]
	v_add_f64 v[38:39], v[42:43], v[38:39]
	v_fma_f64 v[42:43], v[90:91], s[6:7], v[132:133]
	v_mul_f64 v[134:135], v[84:85], s[28:29]
	v_add_f64 v[36:37], v[40:41], v[36:37]
	v_fma_f64 v[40:41], v[76:77], s[20:21], v[130:131]
	v_fma_f64 v[138:139], v[52:53], s[36:37], v[120:121]
	v_mul_f64 v[140:141], v[62:63], s[14:15]
	v_add_f64 v[122:123], v[122:123], v[124:125]
	v_fma_f64 v[124:125], v[88:89], s[36:37], -v[136:137]
	v_add_f64 v[38:39], v[42:43], v[38:39]
	v_fma_f64 v[42:43], v[86:87], s[36:37], v[118:119]
	v_mul_f64 v[118:119], v[46:47], s[40:41]
	v_add_f64 v[34:35], v[40:41], v[32:33]
	v_fma_f64 v[32:33], v[74:75], s[20:21], -v[134:135]
	v_add_f64 v[40:41], v[2:3], v[138:139]
	;; [unrolled: 5-line block ×3, first 2 shown]
	v_fma_f64 v[42:43], v[44:45], s[36:37], -v[118:119]
	v_mul_f64 v[126:127], v[50:51], s[14:15]
	v_add_f64 v[32:33], v[32:33], v[36:37]
	v_add_f64 v[36:37], v[132:133], v[40:41]
	v_fma_f64 v[40:41], v[66:67], s[30:31], v[138:139]
	v_mul_f64 v[132:133], v[108:109], s[18:19]
	v_fma_f64 v[128:129], v[78:79], s[8:9], v[128:129]
	v_add_f64 v[122:123], v[124:125], v[122:123]
	v_fma_f64 v[124:125], v[76:77], s[20:21], -v[130:131]
	v_add_f64 v[42:43], v[0:1], v[42:43]
	v_fma_f64 v[130:131], v[48:49], s[6:7], -v[126:127]
	v_mul_f64 v[142:143], v[60:61], s[46:47]
	v_fma_f64 v[120:121], v[52:53], s[36:37], -v[120:121]
	v_add_f64 v[36:37], v[40:41], v[36:37]
	v_fma_f64 v[40:41], v[94:95], s[8:9], v[132:133]
	v_mul_f64 v[136:137], v[104:105], s[54:55]
	v_add_f64 v[128:129], v[128:129], v[38:39]
	v_add_f64 v[38:39], v[124:125], v[122:123]
	;; [unrolled: 1-line block ×3, first 2 shown]
	v_fma_f64 v[118:119], v[44:45], s[36:37], v[118:119]
	v_fma_f64 v[122:123], v[56:57], s[30:31], -v[142:143]
	v_mul_f64 v[124:125], v[106:107], s[18:19]
	v_fma_f64 v[130:131], v[58:59], s[6:7], -v[140:141]
	v_add_f64 v[120:121], v[2:3], v[120:121]
	v_add_f64 v[36:37], v[40:41], v[36:37]
	v_fma_f64 v[40:41], v[92:93], s[26:27], v[136:137]
	v_fma_f64 v[126:127], v[48:49], s[6:7], v[126:127]
	v_add_f64 v[118:119], v[0:1], v[118:119]
	v_add_f64 v[42:43], v[122:123], v[42:43]
	v_fma_f64 v[122:123], v[64:65], s[8:9], -v[124:125]
	v_mul_f64 v[140:141], v[102:103], s[54:55]
	v_add_f64 v[120:121], v[130:131], v[120:121]
	v_fma_f64 v[130:131], v[66:67], s[30:31], -v[138:139]
	v_add_f64 v[36:37], v[40:41], v[36:37]
	v_mul_f64 v[40:41], v[98:99], s[24:25]
	v_add_f64 v[118:119], v[126:127], v[118:119]
	v_fma_f64 v[126:127], v[56:57], s[30:31], v[142:143]
	v_add_f64 v[42:43], v[122:123], v[42:43]
	v_fma_f64 v[122:123], v[90:91], s[26:27], -v[140:141]
	v_mul_f64 v[138:139], v[100:101], s[24:25]
	v_add_f64 v[120:121], v[130:131], v[120:121]
	v_fma_f64 v[130:131], v[94:95], s[8:9], -v[132:133]
	v_fma_f64 v[134:135], v[74:75], s[20:21], v[134:135]
	v_fma_f64 v[144:145], v[88:89], s[16:17], v[40:41]
	v_mul_f64 v[146:147], v[96:97], s[50:51]
	v_add_f64 v[118:119], v[126:127], v[118:119]
	v_fma_f64 v[124:125], v[64:65], s[8:9], v[124:125]
	v_add_f64 v[42:43], v[122:123], v[42:43]
	v_fma_f64 v[122:123], v[86:87], s[16:17], -v[138:139]
	v_mul_f64 v[126:127], v[54:55], s[50:51]
	v_add_f64 v[120:121], v[130:131], v[120:121]
	v_fma_f64 v[130:131], v[92:93], s[26:27], -v[136:137]
	v_add_f64 v[142:143], v[144:145], v[36:37]
	v_fma_f64 v[144:145], v[80:81], s[20:21], v[146:147]
	v_add_f64 v[36:37], v[134:135], v[128:129]
	v_add_f64 v[118:119], v[124:125], v[118:119]
	v_fma_f64 v[124:125], v[90:91], s[26:27], v[140:141]
	v_add_f64 v[42:43], v[122:123], v[42:43]
	v_mul_f64 v[122:123], v[112:113], s[54:55]
	v_fma_f64 v[132:133], v[78:79], s[20:21], -v[126:127]
	v_mul_f64 v[134:135], v[82:83], s[42:43]
	v_add_f64 v[120:121], v[130:131], v[120:121]
	v_fma_f64 v[40:41], v[88:89], s[16:17], -v[40:41]
	v_add_f64 v[128:129], v[144:145], v[142:143]
	v_mul_f64 v[136:137], v[84:85], s[42:43]
	v_add_f64 v[118:119], v[124:125], v[118:119]
	v_fma_f64 v[124:125], v[86:87], s[16:17], v[138:139]
	v_fma_f64 v[130:131], v[52:53], s[26:27], v[122:123]
	v_mul_f64 v[138:139], v[62:63], s[28:29]
	v_add_f64 v[132:133], v[132:133], v[42:43]
	v_fma_f64 v[42:43], v[76:77], s[22:23], v[134:135]
	v_add_f64 v[120:121], v[40:41], v[120:121]
	v_fma_f64 v[142:143], v[80:81], s[20:21], -v[146:147]
	s_mov_b32 s51, 0x3fc7851a
	s_mov_b32 s50, s14
	v_fma_f64 v[140:141], v[74:75], s[22:23], -v[136:137]
	v_add_f64 v[118:119], v[124:125], v[118:119]
	v_add_f64 v[124:125], v[2:3], v[130:131]
	v_fma_f64 v[130:131], v[58:59], s[20:21], v[138:139]
	v_mul_f64 v[144:145], v[110:111], s[50:51]
	v_fma_f64 v[126:127], v[78:79], s[20:21], v[126:127]
	v_mul_f64 v[146:147], v[46:47], s[54:55]
	v_add_f64 v[42:43], v[42:43], v[128:129]
	v_add_f64 v[120:121], v[142:143], v[120:121]
	v_fma_f64 v[128:129], v[76:77], s[22:23], -v[134:135]
	v_add_f64 v[40:41], v[140:141], v[132:133]
	v_add_f64 v[124:125], v[130:131], v[124:125]
	v_fma_f64 v[130:131], v[66:67], s[6:7], v[144:145]
	v_add_f64 v[118:119], v[126:127], v[118:119]
	v_fma_f64 v[126:127], v[44:45], s[26:27], -v[146:147]
	v_mul_f64 v[132:133], v[50:51], s[28:29]
	v_fma_f64 v[122:123], v[52:53], s[26:27], -v[122:123]
	v_add_f64 v[120:121], v[128:129], v[120:121]
	v_fma_f64 v[128:129], v[44:45], s[26:27], v[146:147]
	v_fma_f64 v[134:135], v[74:75], s[22:23], v[136:137]
	v_mul_f64 v[136:137], v[108:109], s[46:47]
	v_add_f64 v[124:125], v[130:131], v[124:125]
	v_add_f64 v[126:127], v[0:1], v[126:127]
	v_fma_f64 v[130:131], v[48:49], s[20:21], -v[132:133]
	v_mul_f64 v[140:141], v[60:61], s[50:51]
	v_fma_f64 v[138:139], v[58:59], s[20:21], -v[138:139]
	v_add_f64 v[122:123], v[2:3], v[122:123]
	v_fma_f64 v[132:133], v[48:49], s[20:21], v[132:133]
	v_add_f64 v[128:129], v[0:1], v[128:129]
	v_fma_f64 v[142:143], v[94:95], s[30:31], v[136:137]
	v_mul_f64 v[148:149], v[106:107], s[46:47]
	v_add_f64 v[126:127], v[130:131], v[126:127]
	v_fma_f64 v[130:131], v[56:57], s[6:7], -v[140:141]
	v_mul_f64 v[146:147], v[104:105], s[42:43]
	v_add_f64 v[122:123], v[138:139], v[122:123]
	v_fma_f64 v[138:139], v[66:67], s[6:7], -v[144:145]
	v_add_f64 v[128:129], v[132:133], v[128:129]
	v_fma_f64 v[132:133], v[56:57], s[6:7], v[140:141]
	v_add_f64 v[124:125], v[142:143], v[124:125]
	v_mul_f64 v[142:143], v[102:103], s[42:43]
	v_add_f64 v[126:127], v[130:131], v[126:127]
	v_fma_f64 v[130:131], v[64:65], s[30:31], -v[148:149]
	v_fma_f64 v[136:137], v[94:95], s[30:31], -v[136:137]
	v_add_f64 v[122:123], v[138:139], v[122:123]
	v_fma_f64 v[140:141], v[92:93], s[22:23], v[146:147]
	v_add_f64 v[128:129], v[132:133], v[128:129]
	v_fma_f64 v[132:133], v[64:65], s[30:31], v[148:149]
	v_mul_f64 v[144:145], v[98:99], s[44:45]
	v_mul_f64 v[138:139], v[100:101], s[44:45]
	v_add_f64 v[126:127], v[130:131], v[126:127]
	v_fma_f64 v[130:131], v[90:91], s[22:23], -v[142:143]
	v_add_f64 v[122:123], v[136:137], v[122:123]
	v_fma_f64 v[136:137], v[92:93], s[22:23], -v[146:147]
	v_add_f64 v[124:125], v[140:141], v[124:125]
	v_add_f64 v[128:129], v[132:133], v[128:129]
	v_fma_f64 v[132:133], v[90:91], s[22:23], v[142:143]
	v_fma_f64 v[140:141], v[88:89], s[8:9], v[144:145]
	v_mul_f64 v[142:143], v[96:97], s[40:41]
	v_add_f64 v[126:127], v[130:131], v[126:127]
	v_fma_f64 v[130:131], v[86:87], s[8:9], -v[138:139]
	v_mul_f64 v[146:147], v[54:55], s[40:41]
	v_add_f64 v[122:123], v[136:137], v[122:123]
	v_fma_f64 v[136:137], v[88:89], s[8:9], -v[144:145]
	v_add_f64 v[128:129], v[132:133], v[128:129]
	v_fma_f64 v[132:133], v[86:87], s[8:9], v[138:139]
	v_add_f64 v[124:125], v[140:141], v[124:125]
	v_fma_f64 v[138:139], v[80:81], s[36:37], v[142:143]
	v_add_f64 v[126:127], v[130:131], v[126:127]
	v_fma_f64 v[130:131], v[78:79], s[36:37], -v[146:147]
	v_mul_f64 v[140:141], v[82:83], s[24:25]
	v_mul_f64 v[144:145], v[84:85], s[24:25]
	v_add_f64 v[122:123], v[136:137], v[122:123]
	v_fma_f64 v[136:137], v[80:81], s[36:37], -v[142:143]
	v_add_f64 v[128:129], v[132:133], v[128:129]
	v_fma_f64 v[132:133], v[78:79], s[36:37], v[146:147]
	v_add_f64 v[118:119], v[134:135], v[118:119]
	v_mul_f64 v[134:135], v[112:113], s[48:49]
	v_add_f64 v[124:125], v[138:139], v[124:125]
	v_add_f64 v[126:127], v[130:131], v[126:127]
	v_fma_f64 v[130:131], v[76:77], s[16:17], v[140:141]
	v_fma_f64 v[138:139], v[74:75], s[16:17], -v[144:145]
	v_add_f64 v[136:137], v[136:137], v[122:123]
	v_add_f64 v[132:133], v[132:133], v[128:129]
	v_fma_f64 v[128:129], v[76:77], s[16:17], -v[140:141]
	v_fma_f64 v[140:141], v[74:75], s[16:17], v[144:145]
	v_fma_f64 v[142:143], v[52:53], s[22:23], -v[134:135]
	v_mul_f64 v[144:145], v[62:63], s[40:41]
	v_mul_f64 v[112:113], v[112:113], s[44:45]
	v_add_f64 v[122:123], v[138:139], v[126:127]
	v_mul_f64 v[138:139], v[110:111], s[28:29]
	v_add_f64 v[124:125], v[130:131], v[124:125]
	v_add_f64 v[128:129], v[128:129], v[136:137]
	;; [unrolled: 1-line block ×4, first 2 shown]
	v_fma_f64 v[136:137], v[58:59], s[36:37], -v[144:145]
	v_mul_f64 v[130:131], v[46:47], s[48:49]
	v_fma_f64 v[134:135], v[52:53], s[22:23], v[134:135]
	v_fma_f64 v[140:141], v[52:53], s[8:9], v[112:113]
	v_fma_f64 v[52:53], v[52:53], s[8:9], -v[112:113]
	v_mul_f64 v[46:47], v[46:47], s[44:45]
	v_mul_f64 v[146:147], v[50:51], s[40:41]
	;; [unrolled: 1-line block ×3, first 2 shown]
	v_add_f64 v[112:113], v[136:137], v[132:133]
	v_fma_f64 v[132:133], v[66:67], s[20:21], -v[138:139]
	v_mul_f64 v[136:137], v[108:109], s[14:15]
	v_fma_f64 v[142:143], v[44:45], s[22:23], v[130:131]
	v_fma_f64 v[130:131], v[44:45], s[22:23], -v[130:131]
	v_fma_f64 v[152:153], v[44:45], s[8:9], -v[46:47]
	v_fma_f64 v[44:45], v[44:45], s[8:9], v[46:47]
	v_fma_f64 v[148:149], v[48:49], s[36:37], v[146:147]
	v_mul_f64 v[156:157], v[98:99], s[46:47]
	v_add_f64 v[46:47], v[132:133], v[112:113]
	v_fma_f64 v[112:113], v[94:95], s[6:7], -v[136:137]
	v_mul_f64 v[132:133], v[104:105], s[52:53]
	v_add_f64 v[142:143], v[0:1], v[142:143]
	v_add_f64 v[134:135], v[2:3], v[134:135]
	v_mul_f64 v[154:155], v[106:107], s[14:15]
	v_add_f64 v[140:141], v[2:3], v[140:141]
	v_add_f64 v[2:3], v[2:3], v[52:53]
	v_mul_f64 v[52:53], v[62:63], s[48:49]
	v_add_f64 v[46:47], v[112:113], v[46:47]
	v_fma_f64 v[112:113], v[92:93], s[16:17], -v[132:133]
	v_add_f64 v[142:143], v[148:149], v[142:143]
	v_fma_f64 v[148:149], v[56:57], s[20:21], v[150:151]
	v_fma_f64 v[62:63], v[88:89], s[30:31], -v[156:157]
	v_mul_f64 v[50:51], v[50:51], s[48:49]
	v_add_f64 v[130:131], v[0:1], v[130:131]
	v_add_f64 v[152:153], v[0:1], v[152:153]
	v_mul_f64 v[158:159], v[102:103], s[52:53]
	v_add_f64 v[46:47], v[112:113], v[46:47]
	v_add_f64 v[0:1], v[0:1], v[44:45]
	;; [unrolled: 1-line block ×3, first 2 shown]
	v_fma_f64 v[148:149], v[64:65], s[6:7], v[154:155]
	v_mul_f64 v[60:61], v[60:61], s[54:55]
	v_mul_f64 v[110:111], v[110:111], s[54:55]
	;; [unrolled: 1-line block ×3, first 2 shown]
	v_fma_f64 v[112:113], v[90:91], s[16:17], v[158:159]
	v_add_f64 v[46:47], v[62:63], v[46:47]
	v_fma_f64 v[62:63], v[48:49], s[22:23], v[50:51]
	v_mul_f64 v[108:109], v[108:109], s[40:41]
	v_add_f64 v[44:45], v[148:149], v[142:143]
	v_mul_f64 v[142:143], v[100:101], s[46:47]
	v_fma_f64 v[148:149], v[58:59], s[22:23], -v[52:53]
	v_mul_f64 v[102:103], v[102:103], s[38:39]
	v_mul_f64 v[104:105], v[104:105], s[38:39]
	v_fma_f64 v[144:145], v[58:59], s[36:37], v[144:145]
	v_add_f64 v[0:1], v[62:63], v[0:1]
	v_fma_f64 v[62:63], v[56:57], s[26:27], v[60:61]
	v_add_f64 v[44:45], v[112:113], v[44:45]
	;; [unrolled: 2-line block ×3, first 2 shown]
	v_fma_f64 v[148:149], v[66:67], s[26:27], -v[110:111]
	v_mul_f64 v[98:99], v[98:99], s[28:29]
	v_mul_f64 v[160:161], v[96:97], s[34:35]
	;; [unrolled: 1-line block ×3, first 2 shown]
	v_add_f64 v[0:1], v[62:63], v[0:1]
	v_fma_f64 v[62:63], v[64:65], s[36:37], v[106:107]
	v_add_f64 v[44:45], v[112:113], v[44:45]
	v_fma_f64 v[112:113], v[94:95], s[36:37], -v[108:109]
	v_add_f64 v[2:3], v[148:149], v[2:3]
	v_add_f64 v[134:135], v[144:145], v[134:135]
	v_fma_f64 v[138:139], v[66:67], s[20:21], v[138:139]
	v_mul_f64 v[96:97], v[96:97], s[24:25]
	v_fma_f64 v[52:53], v[58:59], s[22:23], v[52:53]
	v_add_f64 v[0:1], v[62:63], v[0:1]
	v_fma_f64 v[62:63], v[90:91], s[30:31], v[102:103]
	v_mul_f64 v[164:165], v[54:55], s[34:35]
	v_add_f64 v[2:3], v[112:113], v[2:3]
	v_fma_f64 v[112:113], v[92:93], s[30:31], -v[104:105]
	v_fma_f64 v[144:145], v[86:87], s[20:21], v[100:101]
	v_mul_f64 v[54:55], v[54:55], s[24:25]
	v_add_f64 v[134:135], v[138:139], v[134:135]
	v_fma_f64 v[136:137], v[94:95], s[6:7], v[136:137]
	v_add_f64 v[0:1], v[62:63], v[0:1]
	v_fma_f64 v[62:63], v[48:49], s[36:37], -v[146:147]
	v_fma_f64 v[48:49], v[48:49], s[22:23], -v[50:51]
	v_add_f64 v[2:3], v[112:113], v[2:3]
	v_fma_f64 v[112:113], v[88:89], s[20:21], -v[98:99]
	v_fma_f64 v[66:67], v[66:67], s[26:27], v[110:111]
	v_add_f64 v[52:53], v[52:53], v[140:141]
	v_add_f64 v[134:135], v[136:137], v[134:135]
	v_add_f64 v[0:1], v[144:145], v[0:1]
	v_add_f64 v[58:59], v[62:63], v[130:131]
	v_fma_f64 v[62:63], v[56:57], s[20:21], -v[150:151]
	v_fma_f64 v[56:57], v[56:57], s[26:27], -v[60:61]
	v_add_f64 v[2:3], v[112:113], v[2:3]
	v_fma_f64 v[112:113], v[80:81], s[16:17], -v[96:97]
	v_add_f64 v[48:49], v[48:49], v[152:153]
	v_fma_f64 v[130:131], v[78:79], s[16:17], v[54:55]
	v_fma_f64 v[132:133], v[92:93], s[16:17], v[132:133]
	v_add_f64 v[52:53], v[66:67], v[52:53]
	v_add_f64 v[50:51], v[62:63], v[58:59]
	v_fma_f64 v[58:59], v[64:65], s[6:7], -v[154:155]
	v_fma_f64 v[64:65], v[64:65], s[36:37], -v[106:107]
	v_add_f64 v[62:63], v[112:113], v[2:3]
	v_fma_f64 v[2:3], v[94:95], s[36:37], v[108:109]
	v_add_f64 v[48:49], v[56:57], v[48:49]
	v_add_f64 v[110:111], v[130:131], v[0:1]
	;; [unrolled: 1-line block ×3, first 2 shown]
	v_fma_f64 v[66:67], v[92:93], s[30:31], v[104:105]
	v_add_f64 v[50:51], v[58:59], v[50:51]
	v_fma_f64 v[58:59], v[90:91], s[16:17], -v[158:159]
	v_fma_f64 v[162:163], v[80:81], s[26:27], -v[160:161]
	v_add_f64 v[2:3], v[2:3], v[52:53]
	v_fma_f64 v[52:53], v[88:89], s[30:31], v[156:157]
	v_add_f64 v[48:49], v[64:65], v[48:49]
	v_fma_f64 v[148:149], v[78:79], s[26:27], v[164:165]
	v_mul_f64 v[60:61], v[82:83], s[18:19]
	v_mul_f64 v[92:93], v[84:85], s[18:19]
	v_add_f64 v[50:51], v[58:59], v[50:51]
	v_fma_f64 v[58:59], v[90:91], s[30:31], -v[102:103]
	v_fma_f64 v[90:91], v[86:87], s[30:31], -v[142:143]
	v_add_f64 v[0:1], v[52:53], v[0:1]
	v_fma_f64 v[52:53], v[88:89], s[20:21], v[98:99]
	v_add_f64 v[2:3], v[66:67], v[2:3]
	v_fma_f64 v[66:67], v[86:87], s[20:21], -v[100:101]
	v_mul_f64 v[64:65], v[82:83], s[14:15]
	v_mul_f64 v[82:83], v[84:85], s[14:15]
	v_add_f64 v[48:49], v[58:59], v[48:49]
	v_add_f64 v[50:51], v[90:91], v[50:51]
	v_fma_f64 v[58:59], v[80:81], s[26:27], v[160:161]
	v_fma_f64 v[84:85], v[78:79], s[26:27], -v[164:165]
	v_fma_f64 v[80:81], v[80:81], s[16:17], v[96:97]
	v_add_f64 v[2:3], v[52:53], v[2:3]
	v_fma_f64 v[54:55], v[78:79], s[16:17], -v[54:55]
	v_add_f64 v[46:47], v[162:163], v[46:47]
	v_add_f64 v[48:49], v[66:67], v[48:49]
	;; [unrolled: 1-line block ×3, first 2 shown]
	v_fma_f64 v[56:57], v[76:77], s[8:9], -v[60:61]
	v_fma_f64 v[94:95], v[74:75], s[8:9], v[92:93]
	v_fma_f64 v[86:87], v[76:77], s[6:7], -v[64:65]
	v_fma_f64 v[52:53], v[74:75], s[6:7], v[82:83]
	v_add_f64 v[58:59], v[58:59], v[0:1]
	v_add_f64 v[66:67], v[84:85], v[50:51]
	v_fma_f64 v[50:51], v[76:77], s[8:9], v[60:61]
	v_fma_f64 v[60:61], v[76:77], s[6:7], v[64:65]
	v_add_f64 v[64:65], v[80:81], v[2:3]
	v_fma_f64 v[76:77], v[74:75], s[8:9], -v[92:93]
	v_fma_f64 v[74:75], v[74:75], s[6:7], -v[82:83]
	v_add_f64 v[78:79], v[54:55], v[48:49]
	v_add_f64 v[2:3], v[56:57], v[46:47]
	v_add_f64 v[0:1], v[94:95], v[44:45]
	v_add_f64 v[46:47], v[86:87], v[62:63]
	v_add_f64 v[44:45], v[52:53], v[110:111]
	v_mul_u32_u24_e32 v56, 0x110, v70
	v_add3_u32 v56, 0, v56, v71
	v_add_f64 v[50:51], v[50:51], v[58:59]
	v_add_f64 v[48:49], v[76:77], v[66:67]
	;; [unrolled: 1-line block ×4, first 2 shown]
	ds_write_b128 v56, v[4:7]
	ds_write_b128 v56, v[44:47] offset:16
	ds_write_b128 v56, v[0:3] offset:32
	;; [unrolled: 1-line block ×16, first 2 shown]
.LBB0_14:
	s_or_b64 exec, exec, s[4:5]
	s_movk_i32 s4, 0xf1
	v_add_u16_e32 v4, 0x44, v70
	v_mul_lo_u16_sdwa v1, v70, s4 dst_sel:DWORD dst_unused:UNUSED_PAD src0_sel:BYTE_0 src1_sel:DWORD
	v_mul_lo_u16_sdwa v13, v4, s4 dst_sel:DWORD dst_unused:UNUSED_PAD src0_sel:BYTE_0 src1_sel:DWORD
	v_lshrrev_b16_e32 v2, 12, v1
	v_lshrrev_b16_e32 v148, 12, v13
	v_mul_lo_u16_e32 v1, 17, v2
	v_mul_lo_u16_e32 v13, 17, v148
	v_sub_u16_e32 v67, v70, v1
	v_mov_b32_e32 v1, 3
	v_sub_u16_e32 v149, v4, v13
	v_mul_u32_u24_sdwa v3, v67, v1 dst_sel:DWORD dst_unused:UNUSED_PAD src0_sel:BYTE_0 src1_sel:DWORD
	v_mul_u32_u24_sdwa v4, v149, v1 dst_sel:DWORD dst_unused:UNUSED_PAD src0_sel:BYTE_0 src1_sel:DWORD
	v_lshlrev_b32_e32 v3, 4, v3
	v_lshlrev_b32_e32 v4, 4, v4
	s_load_dwordx2 s[2:3], s[2:3], 0x0
	s_waitcnt lgkmcnt(0)
	s_barrier
	global_load_dwordx4 v[5:8], v3, s[12:13] offset:16
	global_load_dwordx4 v[9:12], v3, s[12:13]
	global_load_dwordx4 v[13:16], v4, s[12:13] offset:32
	global_load_dwordx4 v[17:20], v4, s[12:13] offset:16
	;; [unrolled: 1-line block ×3, first 2 shown]
	global_load_dwordx4 v[25:28], v4, s[12:13]
	v_add_u16_e32 v3, 0x88, v70
	v_mul_lo_u16_sdwa v4, v3, s4 dst_sel:DWORD dst_unused:UNUSED_PAD src0_sel:BYTE_0 src1_sel:DWORD
	v_lshrrev_b16_e32 v150, 12, v4
	v_mul_lo_u16_e32 v4, 17, v150
	v_sub_u16_e32 v151, v3, v4
	v_mul_u32_u24_sdwa v4, v151, v1 dst_sel:DWORD dst_unused:UNUSED_PAD src0_sel:BYTE_0 src1_sel:DWORD
	v_lshlrev_b32_e32 v37, 4, v4
	global_load_dwordx4 v[29:32], v37, s[12:13] offset:16
	global_load_dwordx4 v[33:36], v37, s[12:13]
	v_add_u32_e32 v0, 0xcc, v70
	s_mov_b32 s4, 0xf0f1
	v_mul_u32_u24_sdwa v4, v0, s4 dst_sel:DWORD dst_unused:UNUSED_PAD src0_sel:WORD_0 src1_sel:DWORD
	v_lshrrev_b32_e32 v152, 20, v4
	v_mul_lo_u16_e32 v38, 17, v152
	v_sub_u16_e32 v153, v0, v38
	v_mul_u32_u24_e32 v41, 3, v153
	global_load_dwordx4 v[37:40], v37, s[12:13] offset:32
	v_lshlrev_b32_e32 v53, 4, v41
	global_load_dwordx4 v[41:44], v53, s[12:13]
	global_load_dwordx4 v[45:48], v53, s[12:13] offset:16
	global_load_dwordx4 v[49:52], v53, s[12:13] offset:32
	ds_read_b128 v[53:56], v115
	ds_read_b128 v[57:60], v117 offset:1088
	ds_read_b128 v[61:64], v117 offset:4352
	;; [unrolled: 1-line block ×15, first 2 shown]
	s_movk_i32 s4, 0x440
	s_waitcnt vmcnt(0) lgkmcnt(0)
	s_barrier
	s_add_u32 s6, s12, 0x42f0
	s_addc_u32 s7, s13, 0
	v_mul_f64 v[138:139], v[92:93], v[15:16]
	v_mul_f64 v[130:131], v[80:81], v[7:8]
	;; [unrolled: 1-line block ×16, first 2 shown]
	v_fma_f64 v[61:62], v[61:62], v[9:10], v[65:66]
	v_fma_f64 v[9:10], v[63:64], v[9:10], -v[11:12]
	v_fma_f64 v[11:12], v[78:79], v[5:6], v[130:131]
	v_mul_f64 v[144:145], v[124:125], v[39:40]
	v_mul_f64 v[39:40], v[122:123], v[39:40]
	;; [unrolled: 1-line block ×4, first 2 shown]
	v_fma_f64 v[5:6], v[80:81], v[5:6], -v[7:8]
	v_fma_f64 v[7:8], v[86:87], v[21:22], v[132:133]
	v_fma_f64 v[21:22], v[88:89], v[21:22], -v[23:24]
	v_fma_f64 v[23:24], v[74:75], v[25:26], v[134:135]
	;; [unrolled: 2-line block ×5, first 2 shown]
	v_fma_f64 v[33:34], v[104:105], v[33:34], -v[35:36]
	v_mul_f64 v[15:16], v[120:121], v[47:48]
	v_mul_f64 v[35:36], v[118:119], v[47:48]
	v_fma_f64 v[47:48], v[110:111], v[29:30], v[142:143]
	v_fma_f64 v[65:66], v[112:113], v[29:30], -v[31:32]
	v_fma_f64 v[74:75], v[122:123], v[37:38], v[144:145]
	v_fma_f64 v[37:38], v[124:125], v[37:38], -v[39:40]
	;; [unrolled: 2-line block ×4, first 2 shown]
	v_add_f64 v[29:30], v[53:54], -v[11:12]
	v_add_f64 v[45:46], v[57:58], -v[27:28]
	;; [unrolled: 1-line block ×8, first 2 shown]
	v_fma_f64 v[17:18], v[53:54], 2.0, -v[29:30]
	v_fma_f64 v[27:28], v[57:58], 2.0, -v[45:46]
	;; [unrolled: 1-line block ×5, first 2 shown]
	v_mul_f64 v[23:24], v[128:129], v[51:52]
	v_mul_f64 v[25:26], v[126:127], v[51:52]
	v_fma_f64 v[7:8], v[9:10], 2.0, -v[15:16]
	v_add_f64 v[9:10], v[29:30], v[15:16]
	v_fma_f64 v[5:6], v[61:62], 2.0, -v[11:12]
	v_add_f64 v[11:12], v[31:32], -v[11:12]
	v_add_f64 v[13:14], v[27:28], -v[13:14]
	;; [unrolled: 1-line block ×3, first 2 shown]
	v_fma_f64 v[51:52], v[126:127], v[49:50], v[23:24]
	v_fma_f64 v[49:50], v[128:129], v[49:50], -v[25:26]
	v_add_f64 v[57:58], v[94:95], -v[47:48]
	v_add_f64 v[59:60], v[96:97], -v[65:66]
	v_add_f64 v[47:48], v[63:64], -v[74:75]
	v_fma_f64 v[19:20], v[55:56], 2.0, -v[31:32]
	v_fma_f64 v[25:26], v[27:28], 2.0, -v[13:14]
	;; [unrolled: 1-line block ×3, first 2 shown]
	v_add_f64 v[53:54], v[33:34], -v[37:38]
	v_fma_f64 v[23:24], v[31:32], 2.0, -v[11:12]
	v_add_f64 v[31:32], v[76:77], -v[78:79]
	v_add_f64 v[65:66], v[98:99], -v[43:44]
	;; [unrolled: 1-line block ×5, first 2 shown]
	v_fma_f64 v[55:56], v[94:95], 2.0, -v[57:58]
	v_fma_f64 v[61:62], v[96:97], 2.0, -v[59:60]
	;; [unrolled: 1-line block ×5, first 2 shown]
	v_add_f64 v[29:30], v[45:46], v[80:81]
	v_fma_f64 v[63:64], v[98:99], 2.0, -v[65:66]
	v_fma_f64 v[74:75], v[100:101], 2.0, -v[78:79]
	;; [unrolled: 1-line block ×4, first 2 shown]
	v_add_f64 v[5:6], v[17:18], -v[5:6]
	v_add_f64 v[7:8], v[19:20], -v[7:8]
	;; [unrolled: 1-line block ×4, first 2 shown]
	v_fma_f64 v[33:34], v[45:46], 2.0, -v[29:30]
	v_add_f64 v[41:42], v[57:58], v[53:54]
	v_add_f64 v[43:44], v[59:60], -v[47:48]
	v_add_f64 v[45:46], v[63:64], -v[80:81]
	;; [unrolled: 1-line block ×3, first 2 shown]
	v_add_f64 v[49:50], v[65:66], v[49:50]
	v_add_f64 v[51:52], v[78:79], -v[51:52]
	v_fma_f64 v[17:18], v[17:18], 2.0, -v[5:6]
	v_fma_f64 v[19:20], v[19:20], 2.0, -v[7:8]
	;; [unrolled: 1-line block ×10, first 2 shown]
	v_mad_u32_u24 v65, v2, s4, 0
	v_mov_b32_e32 v2, 4
	v_lshlrev_b32_sdwa v66, v2, v67 dst_sel:DWORD dst_unused:UNUSED_PAD src0_sel:DWORD src1_sel:BYTE_0
	v_fma_f64 v[76:77], v[78:79], 2.0, -v[51:52]
	v_add3_u32 v65, v65, v66, v71
	ds_write_b128 v65, v[17:20]
	ds_write_b128 v65, v[21:24] offset:272
	ds_write_b128 v65, v[5:8] offset:544
	;; [unrolled: 1-line block ×3, first 2 shown]
	v_mad_u32_u24 v5, v148, s4, 0
	v_lshlrev_b32_sdwa v6, v2, v149 dst_sel:DWORD dst_unused:UNUSED_PAD src0_sel:DWORD src1_sel:BYTE_0
	v_add3_u32 v5, v5, v6, v71
	ds_write_b128 v5, v[25:28]
	ds_write_b128 v5, v[33:36] offset:272
	ds_write_b128 v5, v[13:16] offset:544
	;; [unrolled: 1-line block ×3, first 2 shown]
	v_mad_u32_u24 v5, v150, s4, 0
	v_lshlrev_b32_sdwa v6, v2, v151 dst_sel:DWORD dst_unused:UNUSED_PAD src0_sel:DWORD src1_sel:BYTE_0
	v_add3_u32 v5, v5, v6, v71
	ds_write_b128 v5, v[53:56]
	ds_write_b128 v5, v[57:60] offset:272
	ds_write_b128 v5, v[37:40] offset:544
	;; [unrolled: 1-line block ×3, first 2 shown]
	v_mad_u32_u24 v5, v152, s4, 0
	v_lshlrev_b32_e32 v6, 4, v153
	v_add3_u32 v5, v5, v6, v71
	ds_write_b128 v5, v[61:64]
	ds_write_b128 v5, v[74:77] offset:272
	ds_write_b128 v5, v[45:48] offset:544
	;; [unrolled: 1-line block ×3, first 2 shown]
	v_mul_u32_u24_e32 v5, 3, v70
	v_lshlrev_b32_e32 v17, 4, v5
	s_waitcnt lgkmcnt(0)
	s_barrier
	global_load_dwordx4 v[5:8], v17, s[12:13] offset:816
	global_load_dwordx4 v[9:12], v17, s[12:13] offset:832
	;; [unrolled: 1-line block ×3, first 2 shown]
	s_movk_i32 s4, 0x79
	v_mul_lo_u16_sdwa v17, v3, s4 dst_sel:DWORD dst_unused:UNUSED_PAD src0_sel:BYTE_0 src1_sel:DWORD
	v_lshrrev_b16_e32 v17, 13, v17
	v_mul_lo_u16_e32 v17, 0x44, v17
	v_sub_u16_e32 v67, v3, v17
	v_mul_u32_u24_sdwa v1, v67, v1 dst_sel:DWORD dst_unused:UNUSED_PAD src0_sel:BYTE_0 src1_sel:DWORD
	v_lshlrev_b32_e32 v1, 4, v1
	global_load_dwordx4 v[17:20], v1, s[12:13] offset:816
	global_load_dwordx4 v[21:24], v1, s[12:13] offset:848
	;; [unrolled: 1-line block ×3, first 2 shown]
	v_lshrrev_b32_e32 v1, 22, v4
	v_mul_lo_u16_e32 v1, 0x44, v1
	v_sub_u16_e32 v124, v0, v1
	v_mul_u32_u24_e32 v0, 3, v124
	v_lshlrev_b32_e32 v0, 4, v0
	global_load_dwordx4 v[29:32], v0, s[12:13] offset:816
	global_load_dwordx4 v[33:36], v0, s[12:13] offset:832
	global_load_dwordx4 v[37:40], v0, s[12:13] offset:848
	ds_read_b128 v[41:44], v115
	ds_read_b128 v[45:48], v117 offset:1088
	ds_read_b128 v[49:52], v117 offset:4352
	;; [unrolled: 1-line block ×15, first 2 shown]
	s_waitcnt vmcnt(0) lgkmcnt(0)
	s_barrier
	s_movk_i32 s4, 0x1000
	v_mul_f64 v[0:1], v[51:52], v[7:8]
	v_mul_f64 v[3:4], v[49:50], v[7:8]
	;; [unrolled: 1-line block ×6, first 2 shown]
	v_fma_f64 v[0:1], v[49:50], v[5:6], v[0:1]
	v_fma_f64 v[3:4], v[51:52], v[5:6], -v[3:4]
	v_fma_f64 v[49:50], v[57:58], v[9:10], v[65:66]
	v_fma_f64 v[51:52], v[59:60], v[9:10], -v[118:119]
	;; [unrolled: 2-line block ×3, first 2 shown]
	v_mul_f64 v[65:66], v[55:56], v[7:8]
	v_mul_f64 v[7:8], v[53:54], v[7:8]
	;; [unrolled: 1-line block ×8, first 2 shown]
	v_fma_f64 v[53:54], v[53:54], v[5:6], v[65:66]
	v_fma_f64 v[5:6], v[55:56], v[5:6], -v[7:8]
	v_fma_f64 v[7:8], v[61:62], v[9:10], v[74:75]
	v_fma_f64 v[9:10], v[63:64], v[9:10], -v[11:12]
	;; [unrolled: 2-line block ×4, first 2 shown]
	v_mul_f64 v[15:16], v[100:101], v[27:28]
	v_mul_f64 v[17:18], v[98:99], v[27:28]
	;; [unrolled: 1-line block ×8, first 2 shown]
	v_fma_f64 v[65:66], v[98:99], v[25:26], v[15:16]
	v_add_f64 v[15:16], v[0:1], -v[57:58]
	v_fma_f64 v[76:77], v[106:107], v[21:22], v[19:20]
	v_fma_f64 v[80:81], v[94:95], v[29:30], v[27:28]
	v_fma_f64 v[31:32], v[96:97], v[29:30], -v[31:32]
	v_fma_f64 v[63:64], v[102:103], v[33:34], v[63:64]
	v_fma_f64 v[33:34], v[104:105], v[33:34], -v[35:36]
	v_add_f64 v[19:20], v[41:42], -v[49:50]
	v_add_f64 v[35:36], v[45:46], -v[7:8]
	;; [unrolled: 1-line block ×3, first 2 shown]
	v_fma_f64 v[74:75], v[100:101], v[25:26], -v[17:18]
	v_fma_f64 v[78:79], v[108:109], v[21:22], -v[23:24]
	v_add_f64 v[21:22], v[43:44], -v[51:52]
	v_add_f64 v[17:18], v[3:4], -v[59:60]
	;; [unrolled: 1-line block ×4, first 2 shown]
	v_fma_f64 v[23:24], v[41:42], 2.0, -v[19:20]
	v_fma_f64 v[0:1], v[0:1], 2.0, -v[15:16]
	;; [unrolled: 1-line block ×4, first 2 shown]
	v_mul_f64 v[45:46], v[112:113], v[39:40]
	v_mul_f64 v[39:40], v[110:111], v[39:40]
	v_fma_f64 v[25:26], v[43:44], 2.0, -v[21:22]
	v_fma_f64 v[7:8], v[3:4], 2.0, -v[17:18]
	;; [unrolled: 1-line block ×4, first 2 shown]
	v_add_f64 v[3:4], v[23:24], -v[0:1]
	v_add_f64 v[11:12], v[41:42], -v[11:12]
	v_fma_f64 v[0:1], v[110:111], v[37:38], v[45:46]
	v_fma_f64 v[37:38], v[112:113], v[37:38], -v[39:40]
	v_add_f64 v[9:10], v[21:22], -v[15:16]
	v_add_f64 v[5:6], v[25:26], -v[7:8]
	;; [unrolled: 1-line block ×4, first 2 shown]
	v_fma_f64 v[15:16], v[23:24], 2.0, -v[3:4]
	v_fma_f64 v[23:24], v[41:42], 2.0, -v[11:12]
	v_add_f64 v[59:60], v[84:85], -v[74:75]
	v_add_f64 v[41:42], v[55:56], -v[76:77]
	;; [unrolled: 1-line block ×7, first 2 shown]
	v_add_f64 v[7:8], v[19:20], v[17:18]
	v_fma_f64 v[17:18], v[25:26], 2.0, -v[5:6]
	v_fma_f64 v[25:26], v[43:44], 2.0, -v[13:14]
	v_add_f64 v[27:28], v[35:36], v[27:28]
	v_fma_f64 v[51:52], v[82:83], 2.0, -v[57:58]
	v_fma_f64 v[53:54], v[84:85], 2.0, -v[59:60]
	;; [unrolled: 1-line block ×8, first 2 shown]
	v_add_f64 v[29:30], v[49:50], -v[29:30]
	v_fma_f64 v[31:32], v[35:36], 2.0, -v[27:28]
	v_add_f64 v[35:36], v[51:52], -v[37:38]
	v_add_f64 v[37:38], v[53:54], -v[43:44]
	v_add_f64 v[39:40], v[57:58], v[39:40]
	v_add_f64 v[41:42], v[59:60], -v[41:42]
	v_add_f64 v[43:44], v[61:62], -v[45:46]
	;; [unrolled: 1-line block ×3, first 2 shown]
	v_fma_f64 v[33:34], v[49:50], 2.0, -v[29:30]
	v_add_f64 v[47:48], v[63:64], v[47:48]
	v_add_f64 v[49:50], v[65:66], -v[0:1]
	v_fma_f64 v[51:52], v[51:52], 2.0, -v[35:36]
	v_fma_f64 v[53:54], v[53:54], 2.0, -v[37:38]
	;; [unrolled: 1-line block ×10, first 2 shown]
	v_lshlrev_b32_sdwa v0, v2, v67 dst_sel:DWORD dst_unused:UNUSED_PAD src0_sel:DWORD src1_sel:BYTE_0
	v_add3_u32 v0, 0, v0, v71
	ds_write_b128 v117, v[15:18]
	ds_write_b128 v117, v[19:22] offset:1088
	ds_write_b128 v117, v[3:6] offset:2176
	;; [unrolled: 1-line block ×11, first 2 shown]
	v_lshlrev_b32_e32 v0, 4, v124
	v_add3_u32 v0, 0, v0, v71
	v_mov_b32_e32 v71, 0
	v_lshlrev_b64 v[4:5], 4, v[70:71]
	ds_write_b128 v0, v[59:62] offset:13056
	ds_write_b128 v0, v[63:66] offset:14144
	;; [unrolled: 1-line block ×4, first 2 shown]
	v_mov_b32_e32 v1, s13
	v_add_co_u32_e32 v0, vcc, s12, v4
	v_addc_co_u32_e32 v1, vcc, v1, v5, vcc
	v_add_co_u32_e32 v2, vcc, s4, v0
	v_addc_co_u32_e32 v3, vcc, 0, v1, vcc
	s_waitcnt lgkmcnt(0)
	s_barrier
	global_load_dwordx4 v[6:9], v[0:1], off offset:4080
	global_load_dwordx4 v[10:13], v[2:3], off offset:1072
	;; [unrolled: 1-line block ×4, first 2 shown]
	ds_read_b128 v[22:25], v115
	ds_read_b128 v[26:29], v117 offset:1088
	ds_read_b128 v[30:33], v117 offset:8704
	ds_read_b128 v[34:37], v117 offset:9792
	ds_read_b128 v[38:41], v117 offset:2176
	ds_read_b128 v[42:45], v117 offset:3264
	ds_read_b128 v[46:49], v117 offset:10880
	ds_read_b128 v[50:53], v117 offset:11968
	ds_read_b128 v[54:57], v117 offset:4352
	ds_read_b128 v[58:61], v117 offset:5440
	ds_read_b128 v[62:65], v117 offset:13056
	ds_read_b128 v[74:77], v117 offset:14144
	ds_read_b128 v[78:81], v117 offset:6528
	ds_read_b128 v[82:85], v117 offset:7616
	ds_read_b128 v[86:89], v117 offset:15232
	ds_read_b128 v[90:93], v117 offset:16320
	s_movk_i32 s4, 0x2000
	s_waitcnt vmcnt(0) lgkmcnt(0)
	s_barrier
	v_mul_f64 v[94:95], v[36:37], v[12:13]
	v_mul_f64 v[2:3], v[32:33], v[8:9]
	;; [unrolled: 1-line block ×8, first 2 shown]
	v_fma_f64 v[2:3], v[30:31], v[6:7], v[2:3]
	v_fma_f64 v[30:31], v[32:33], v[6:7], -v[66:67]
	v_fma_f64 v[32:33], v[34:35], v[10:11], v[94:95]
	v_fma_f64 v[34:35], v[36:37], v[10:11], -v[96:97]
	;; [unrolled: 2-line block ×4, first 2 shown]
	v_mul_f64 v[52:53], v[64:65], v[8:9]
	v_mul_f64 v[8:9], v[62:63], v[8:9]
	;; [unrolled: 1-line block ×8, first 2 shown]
	v_fma_f64 v[52:53], v[62:63], v[6:7], v[52:53]
	v_fma_f64 v[62:63], v[64:65], v[6:7], -v[8:9]
	v_fma_f64 v[64:65], v[74:75], v[10:11], v[66:67]
	v_fma_f64 v[66:67], v[76:77], v[10:11], -v[12:13]
	;; [unrolled: 2-line block ×4, first 2 shown]
	v_add_f64 v[6:7], v[22:23], -v[2:3]
	v_add_f64 v[8:9], v[24:25], -v[30:31]
	;; [unrolled: 1-line block ×8, first 2 shown]
	v_fma_f64 v[22:23], v[22:23], 2.0, -v[6:7]
	v_fma_f64 v[24:25], v[24:25], 2.0, -v[8:9]
	;; [unrolled: 1-line block ×6, first 2 shown]
	v_add_f64 v[38:39], v[54:55], -v[52:53]
	v_add_f64 v[40:41], v[56:57], -v[62:63]
	;; [unrolled: 1-line block ×8, first 2 shown]
	v_fma_f64 v[26:27], v[26:27], 2.0, -v[10:11]
	v_fma_f64 v[28:29], v[28:29], 2.0, -v[12:13]
	v_add_co_u32_e32 v2, vcc, s4, v0
	v_addc_co_u32_e32 v3, vcc, 0, v1, vcc
	v_fma_f64 v[54:55], v[54:55], 2.0, -v[38:39]
	v_fma_f64 v[56:57], v[56:57], 2.0, -v[40:41]
	;; [unrolled: 1-line block ×8, first 2 shown]
	ds_write_b128 v117, v[22:25]
	ds_write_b128 v117, v[6:9] offset:4352
	ds_write_b128 v117, v[26:29] offset:1088
	;; [unrolled: 1-line block ×15, first 2 shown]
	s_waitcnt lgkmcnt(0)
	s_barrier
	global_load_dwordx4 v[6:9], v[2:3], off offset:240
	global_load_dwordx4 v[10:13], v[2:3], off offset:1328
	;; [unrolled: 1-line block ×4, first 2 shown]
	s_movk_i32 s4, 0x3000
	v_add_co_u32_e32 v34, vcc, s4, v0
	v_addc_co_u32_e32 v35, vcc, 0, v1, vcc
	global_load_dwordx4 v[0:3], v[34:35], off offset:496
	global_load_dwordx4 v[22:25], v[34:35], off offset:1584
	;; [unrolled: 1-line block ×4, first 2 shown]
	ds_read_b128 v[34:37], v115
	ds_read_b128 v[38:41], v117 offset:1088
	ds_read_b128 v[42:45], v117 offset:8704
	;; [unrolled: 1-line block ×15, first 2 shown]
	s_waitcnt vmcnt(0) lgkmcnt(0)
	s_barrier
	v_cmp_ne_u32_e32 vcc, 0, v70
	v_mul_f64 v[66:67], v[44:45], v[8:9]
	v_mul_f64 v[8:9], v[42:43], v[8:9]
	;; [unrolled: 1-line block ×8, first 2 shown]
	v_fma_f64 v[42:43], v[42:43], v[6:7], v[66:67]
	v_fma_f64 v[6:7], v[44:45], v[6:7], -v[8:9]
	v_fma_f64 v[8:9], v[46:47], v[10:11], v[106:107]
	v_fma_f64 v[10:11], v[48:49], v[10:11], -v[12:13]
	;; [unrolled: 2-line block ×4, first 2 shown]
	v_mul_f64 v[20:21], v[84:85], v[2:3]
	v_mul_f64 v[2:3], v[82:83], v[2:3]
	;; [unrolled: 1-line block ×8, first 2 shown]
	v_fma_f64 v[58:59], v[82:83], v[0:1], v[20:21]
	v_fma_f64 v[60:61], v[84:85], v[0:1], -v[2:3]
	v_fma_f64 v[44:45], v[86:87], v[22:23], v[44:45]
	v_fma_f64 v[62:63], v[88:89], v[22:23], -v[24:25]
	;; [unrolled: 2-line block ×4, first 2 shown]
	v_add_f64 v[0:1], v[34:35], -v[42:43]
	v_add_f64 v[2:3], v[36:37], -v[6:7]
	;; [unrolled: 1-line block ×8, first 2 shown]
	v_fma_f64 v[18:19], v[34:35], 2.0, -v[0:1]
	v_fma_f64 v[20:21], v[36:37], 2.0, -v[2:3]
	;; [unrolled: 1-line block ×4, first 2 shown]
	v_add_f64 v[34:35], v[74:75], -v[58:59]
	v_add_f64 v[36:37], v[76:77], -v[60:61]
	;; [unrolled: 1-line block ×8, first 2 shown]
	v_fma_f64 v[26:27], v[50:51], 2.0, -v[10:11]
	v_fma_f64 v[28:29], v[52:53], 2.0, -v[12:13]
	;; [unrolled: 1-line block ×12, first 2 shown]
	ds_write_b128 v117, v[18:21]
	ds_write_b128 v117, v[0:3] offset:8704
	ds_write_b128 v117, v[22:25] offset:1088
	;; [unrolled: 1-line block ×15, first 2 shown]
	s_waitcnt lgkmcnt(0)
	s_barrier
	ds_read_b128 v[0:3], v115
	v_sub_u32_e32 v10, v114, v116
                                        ; implicit-def: $vgpr8_vgpr9
                                        ; implicit-def: $vgpr6_vgpr7
	s_and_saveexec_b64 s[4:5], vcc
	s_xor_b64 s[4:5], exec, s[4:5]
	s_cbranch_execz .LBB0_16
; %bb.15:
	v_mov_b32_e32 v7, s7
	v_add_co_u32_e32 v6, vcc, s6, v4
	v_addc_co_u32_e32 v7, vcc, v7, v5, vcc
	global_load_dwordx4 v[11:14], v[6:7], off
	ds_read_b128 v[6:9], v10 offset:17408
	s_waitcnt lgkmcnt(0)
	v_add_f64 v[15:16], v[0:1], -v[6:7]
	v_add_f64 v[17:18], v[2:3], v[8:9]
	v_add_f64 v[2:3], v[2:3], -v[8:9]
	v_add_f64 v[0:1], v[0:1], v[6:7]
	v_mul_f64 v[8:9], v[15:16], 0.5
	v_mul_f64 v[15:16], v[17:18], 0.5
	;; [unrolled: 1-line block ×3, first 2 shown]
	s_waitcnt vmcnt(0)
	v_mul_f64 v[6:7], v[8:9], v[13:14]
	v_fma_f64 v[17:18], v[15:16], v[13:14], v[2:3]
	v_fma_f64 v[2:3], v[15:16], v[13:14], -v[2:3]
	v_fma_f64 v[13:14], v[0:1], 0.5, v[6:7]
	v_fma_f64 v[0:1], v[0:1], 0.5, -v[6:7]
	v_fma_f64 v[17:18], -v[11:12], v[8:9], v[17:18]
	v_fma_f64 v[2:3], -v[11:12], v[8:9], v[2:3]
	ds_write_b64 v115, v[17:18] offset:8
	ds_write_b64 v10, v[2:3] offset:17416
	v_fma_f64 v[6:7], v[15:16], v[11:12], v[13:14]
	v_fma_f64 v[8:9], -v[15:16], v[11:12], v[0:1]
                                        ; implicit-def: $vgpr0_vgpr1
.LBB0_16:
	s_andn2_saveexec_b64 s[4:5], s[4:5]
	s_cbranch_execz .LBB0_18
; %bb.17:
	s_mov_b32 s8, 0
	s_mov_b32 s9, s8
	v_mov_b32_e32 v12, s9
	s_waitcnt lgkmcnt(0)
	v_add_f64 v[6:7], v[0:1], v[2:3]
	v_mov_b32_e32 v11, s8
	v_add_f64 v[8:9], v[0:1], -v[2:3]
	ds_write_b64 v115, v[11:12] offset:8
	ds_write_b64 v10, v[11:12] offset:17416
	ds_read_b64 v[0:1], v114 offset:8712
	s_waitcnt lgkmcnt(0)
	v_xor_b32_e32 v1, 0x80000000, v1
	ds_write_b64 v114, v[0:1] offset:8712
.LBB0_18:
	s_or_b64 exec, exec, s[4:5]
	s_waitcnt lgkmcnt(0)
	v_mov_b32_e32 v0, s7
	v_add_co_u32_e32 v19, vcc, s6, v4
	v_addc_co_u32_e32 v20, vcc, v0, v5, vcc
	global_load_dwordx4 v[0:3], v[19:20], off offset:1088
	global_load_dwordx4 v[11:14], v[19:20], off offset:2176
	ds_write_b64 v115, v[6:7]
	ds_write_b64 v10, v[8:9] offset:17408
	ds_read_b128 v[4:7], v115 offset:1088
	ds_read_b128 v[15:18], v10 offset:16320
	s_movk_i32 s4, 0x1000
	v_add_u32_e32 v25, 0x800, v115
	s_waitcnt lgkmcnt(0)
	v_add_f64 v[8:9], v[4:5], -v[15:16]
	v_add_f64 v[21:22], v[6:7], v[17:18]
	v_add_f64 v[6:7], v[6:7], -v[17:18]
	v_add_f64 v[4:5], v[4:5], v[15:16]
	v_mul_f64 v[8:9], v[8:9], 0.5
	v_mul_f64 v[17:18], v[21:22], 0.5
	;; [unrolled: 1-line block ×3, first 2 shown]
	s_waitcnt vmcnt(1)
	v_mul_f64 v[15:16], v[8:9], v[2:3]
	v_fma_f64 v[21:22], v[17:18], v[2:3], v[6:7]
	v_fma_f64 v[6:7], v[17:18], v[2:3], -v[6:7]
	v_fma_f64 v[23:24], v[4:5], 0.5, v[15:16]
	v_fma_f64 v[15:16], v[4:5], 0.5, -v[15:16]
	global_load_dwordx4 v[2:5], v[19:20], off offset:3264
	v_fma_f64 v[21:22], -v[0:1], v[8:9], v[21:22]
	v_fma_f64 v[8:9], -v[0:1], v[8:9], v[6:7]
	v_add_co_u32_e32 v19, vcc, s4, v19
	v_addc_co_u32_e32 v20, vcc, 0, v20, vcc
	v_fma_f64 v[23:24], v[17:18], v[0:1], v[23:24]
	v_fma_f64 v[6:7], -v[17:18], v[0:1], v[15:16]
	ds_write2_b64 v115, v[23:24], v[21:22] offset0:136 offset1:137
	ds_write_b128 v10, v[6:9] offset:16320
	ds_read_b128 v[6:9], v115 offset:2176
	ds_read_b128 v[15:18], v10 offset:15232
	s_waitcnt lgkmcnt(0)
	v_add_f64 v[0:1], v[6:7], -v[15:16]
	v_add_f64 v[21:22], v[8:9], v[17:18]
	v_add_f64 v[8:9], v[8:9], -v[17:18]
	v_add_f64 v[6:7], v[6:7], v[15:16]
	v_mul_f64 v[0:1], v[0:1], 0.5
	v_mul_f64 v[17:18], v[21:22], 0.5
	;; [unrolled: 1-line block ×3, first 2 shown]
	s_waitcnt vmcnt(1)
	v_mul_f64 v[15:16], v[0:1], v[13:14]
	v_fma_f64 v[21:22], v[17:18], v[13:14], v[8:9]
	v_fma_f64 v[13:14], v[17:18], v[13:14], -v[8:9]
	v_fma_f64 v[23:24], v[6:7], 0.5, v[15:16]
	v_fma_f64 v[15:16], v[6:7], 0.5, -v[15:16]
	global_load_dwordx4 v[6:9], v[19:20], off offset:256
	v_fma_f64 v[21:22], -v[11:12], v[0:1], v[21:22]
	v_fma_f64 v[13:14], -v[11:12], v[0:1], v[13:14]
	v_fma_f64 v[0:1], v[17:18], v[11:12], v[23:24]
	v_fma_f64 v[11:12], -v[17:18], v[11:12], v[15:16]
	ds_write2_b64 v25, v[0:1], v[21:22] offset0:16 offset1:17
	ds_write_b128 v10, v[11:14] offset:15232
	ds_read_b128 v[11:14], v115 offset:3264
	ds_read_b128 v[15:18], v10 offset:14144
	s_waitcnt lgkmcnt(0)
	v_add_f64 v[0:1], v[11:12], -v[15:16]
	v_add_f64 v[21:22], v[13:14], v[17:18]
	v_add_f64 v[13:14], v[13:14], -v[17:18]
	v_add_f64 v[11:12], v[11:12], v[15:16]
	v_mul_f64 v[0:1], v[0:1], 0.5
	v_mul_f64 v[17:18], v[21:22], 0.5
	;; [unrolled: 1-line block ×3, first 2 shown]
	s_waitcnt vmcnt(1)
	v_mul_f64 v[15:16], v[0:1], v[4:5]
	v_fma_f64 v[21:22], v[17:18], v[4:5], v[13:14]
	v_fma_f64 v[4:5], v[17:18], v[4:5], -v[13:14]
	v_fma_f64 v[23:24], v[11:12], 0.5, v[15:16]
	v_fma_f64 v[15:16], v[11:12], 0.5, -v[15:16]
	global_load_dwordx4 v[11:14], v[19:20], off offset:1344
	v_fma_f64 v[21:22], -v[2:3], v[0:1], v[21:22]
	v_fma_f64 v[4:5], -v[2:3], v[0:1], v[4:5]
	v_fma_f64 v[0:1], v[17:18], v[2:3], v[23:24]
	v_fma_f64 v[2:3], -v[17:18], v[2:3], v[15:16]
	ds_write2_b64 v25, v[0:1], v[21:22] offset0:152 offset1:153
	ds_write_b128 v10, v[2:5] offset:14144
	ds_read_b128 v[0:3], v115 offset:4352
	ds_read_b128 v[15:18], v10 offset:13056
	v_add_u32_e32 v25, 0x1000, v115
	s_waitcnt lgkmcnt(0)
	v_add_f64 v[4:5], v[0:1], -v[15:16]
	v_add_f64 v[21:22], v[2:3], v[17:18]
	v_add_f64 v[2:3], v[2:3], -v[17:18]
	v_add_f64 v[0:1], v[0:1], v[15:16]
	v_mul_f64 v[4:5], v[4:5], 0.5
	v_mul_f64 v[17:18], v[21:22], 0.5
	;; [unrolled: 1-line block ×3, first 2 shown]
	s_waitcnt vmcnt(1)
	v_mul_f64 v[15:16], v[4:5], v[8:9]
	v_fma_f64 v[21:22], v[17:18], v[8:9], v[2:3]
	v_fma_f64 v[8:9], v[17:18], v[8:9], -v[2:3]
	v_fma_f64 v[23:24], v[0:1], 0.5, v[15:16]
	v_fma_f64 v[15:16], v[0:1], 0.5, -v[15:16]
	global_load_dwordx4 v[0:3], v[19:20], off offset:2432
	v_fma_f64 v[21:22], -v[6:7], v[4:5], v[21:22]
	v_fma_f64 v[8:9], -v[6:7], v[4:5], v[8:9]
	v_fma_f64 v[4:5], v[17:18], v[6:7], v[23:24]
	v_fma_f64 v[6:7], -v[17:18], v[6:7], v[15:16]
	ds_write2_b64 v25, v[4:5], v[21:22] offset0:32 offset1:33
	ds_write_b128 v10, v[6:9] offset:13056
	ds_read_b128 v[4:7], v115 offset:5440
	ds_read_b128 v[15:18], v10 offset:11968
	s_waitcnt lgkmcnt(0)
	v_add_f64 v[8:9], v[4:5], -v[15:16]
	v_add_f64 v[21:22], v[6:7], v[17:18]
	v_add_f64 v[6:7], v[6:7], -v[17:18]
	v_add_f64 v[4:5], v[4:5], v[15:16]
	v_mul_f64 v[8:9], v[8:9], 0.5
	v_mul_f64 v[17:18], v[21:22], 0.5
	;; [unrolled: 1-line block ×3, first 2 shown]
	s_waitcnt vmcnt(1)
	v_mul_f64 v[15:16], v[8:9], v[13:14]
	v_fma_f64 v[21:22], v[17:18], v[13:14], v[6:7]
	v_fma_f64 v[13:14], v[17:18], v[13:14], -v[6:7]
	v_fma_f64 v[23:24], v[4:5], 0.5, v[15:16]
	v_fma_f64 v[15:16], v[4:5], 0.5, -v[15:16]
	global_load_dwordx4 v[4:7], v[19:20], off offset:3520
	v_fma_f64 v[19:20], -v[11:12], v[8:9], v[21:22]
	v_fma_f64 v[13:14], -v[11:12], v[8:9], v[13:14]
	v_fma_f64 v[8:9], v[17:18], v[11:12], v[23:24]
	v_fma_f64 v[11:12], -v[17:18], v[11:12], v[15:16]
	ds_write2_b64 v25, v[8:9], v[19:20] offset0:168 offset1:169
	ds_write_b128 v10, v[11:14] offset:11968
	ds_read_b128 v[11:14], v115 offset:6528
	ds_read_b128 v[15:18], v10 offset:10880
	s_waitcnt lgkmcnt(0)
	v_add_f64 v[8:9], v[11:12], -v[15:16]
	v_add_f64 v[19:20], v[13:14], v[17:18]
	v_add_f64 v[13:14], v[13:14], -v[17:18]
	v_add_f64 v[11:12], v[11:12], v[15:16]
	v_mul_f64 v[8:9], v[8:9], 0.5
	v_mul_f64 v[17:18], v[19:20], 0.5
	;; [unrolled: 1-line block ×3, first 2 shown]
	s_waitcnt vmcnt(1)
	v_mul_f64 v[15:16], v[8:9], v[2:3]
	v_fma_f64 v[19:20], v[17:18], v[2:3], v[13:14]
	v_fma_f64 v[2:3], v[17:18], v[2:3], -v[13:14]
	v_fma_f64 v[13:14], v[11:12], 0.5, v[15:16]
	v_fma_f64 v[11:12], v[11:12], 0.5, -v[15:16]
	v_fma_f64 v[15:16], -v[0:1], v[8:9], v[19:20]
	v_fma_f64 v[2:3], -v[0:1], v[8:9], v[2:3]
	v_fma_f64 v[8:9], v[17:18], v[0:1], v[13:14]
	v_fma_f64 v[0:1], -v[17:18], v[0:1], v[11:12]
	v_add_u32_e32 v17, 0x1800, v115
	ds_write2_b64 v17, v[8:9], v[15:16] offset0:48 offset1:49
	ds_write_b128 v10, v[0:3] offset:10880
	ds_read_b128 v[0:3], v115 offset:7616
	ds_read_b128 v[11:14], v10 offset:9792
	s_waitcnt lgkmcnt(0)
	v_add_f64 v[8:9], v[0:1], -v[11:12]
	v_add_f64 v[15:16], v[2:3], v[13:14]
	v_add_f64 v[2:3], v[2:3], -v[13:14]
	v_add_f64 v[0:1], v[0:1], v[11:12]
	v_mul_f64 v[8:9], v[8:9], 0.5
	v_mul_f64 v[13:14], v[15:16], 0.5
	;; [unrolled: 1-line block ×3, first 2 shown]
	s_waitcnt vmcnt(0)
	v_mul_f64 v[11:12], v[8:9], v[6:7]
	v_fma_f64 v[15:16], v[13:14], v[6:7], v[2:3]
	v_fma_f64 v[2:3], v[13:14], v[6:7], -v[2:3]
	v_fma_f64 v[6:7], v[0:1], 0.5, v[11:12]
	v_fma_f64 v[0:1], v[0:1], 0.5, -v[11:12]
	v_fma_f64 v[11:12], -v[4:5], v[8:9], v[15:16]
	v_fma_f64 v[2:3], -v[4:5], v[8:9], v[2:3]
	v_fma_f64 v[6:7], v[13:14], v[4:5], v[6:7]
	v_fma_f64 v[0:1], -v[13:14], v[4:5], v[0:1]
	ds_write2_b64 v17, v[6:7], v[11:12] offset0:184 offset1:185
	ds_write_b128 v10, v[0:3] offset:9792
	s_waitcnt lgkmcnt(0)
	s_barrier
	s_and_saveexec_b64 s[4:5], s[0:1]
	s_cbranch_execz .LBB0_21
; %bb.19:
	v_mul_lo_u32 v0, s3, v72
	v_mul_lo_u32 v3, s2, v73
	v_mad_u64_u32 v[1:2], s[0:1], s2, v72, 0
	v_mov_b32_e32 v7, s11
	v_mov_b32_e32 v71, 0
	v_add3_u32 v2, v2, v3, v0
	v_lshlrev_b64 v[1:2], 4, v[1:2]
	v_lshl_add_u32 v0, v70, 4, v114
	v_add_co_u32_e32 v1, vcc, s10, v1
	v_addc_co_u32_e32 v9, vcc, v7, v2, vcc
	v_lshlrev_b64 v[7:8], 4, v[68:69]
	ds_read_b128 v[3:6], v0
	v_add_co_u32_e32 v2, vcc, v1, v7
	v_addc_co_u32_e32 v1, vcc, v9, v8, vcc
	v_lshlrev_b64 v[7:8], 4, v[70:71]
	s_movk_i32 s0, 0x43
	v_add_co_u32_e32 v11, vcc, v2, v7
	v_addc_co_u32_e32 v12, vcc, v1, v8, vcc
	ds_read_b128 v[7:10], v0 offset:1088
	s_waitcnt lgkmcnt(1)
	global_store_dwordx4 v[11:12], v[3:6], off
	s_nop 0
	v_add_u32_e32 v3, 0x44, v70
	v_mov_b32_e32 v4, v71
	v_lshlrev_b64 v[3:4], 4, v[3:4]
	v_add_co_u32_e32 v3, vcc, v2, v3
	v_addc_co_u32_e32 v4, vcc, v1, v4, vcc
	s_waitcnt lgkmcnt(0)
	global_store_dwordx4 v[3:4], v[7:10], off
	ds_read_b128 v[3:6], v0 offset:2176
	v_add_u32_e32 v7, 0x88, v70
	v_mov_b32_e32 v8, v71
	v_lshlrev_b64 v[7:8], 4, v[7:8]
	v_add_co_u32_e32 v11, vcc, v2, v7
	v_addc_co_u32_e32 v12, vcc, v1, v8, vcc
	ds_read_b128 v[7:10], v0 offset:3264
	s_waitcnt lgkmcnt(1)
	global_store_dwordx4 v[11:12], v[3:6], off
	s_nop 0
	v_add_u32_e32 v3, 0xcc, v70
	v_mov_b32_e32 v4, v71
	v_lshlrev_b64 v[3:4], 4, v[3:4]
	v_add_co_u32_e32 v3, vcc, v2, v3
	v_addc_co_u32_e32 v4, vcc, v1, v4, vcc
	s_waitcnt lgkmcnt(0)
	global_store_dwordx4 v[3:4], v[7:10], off
	ds_read_b128 v[3:6], v0 offset:4352
	v_add_u32_e32 v7, 0x110, v70
	v_mov_b32_e32 v8, v71
	v_lshlrev_b64 v[7:8], 4, v[7:8]
	v_add_co_u32_e32 v11, vcc, v2, v7
	v_addc_co_u32_e32 v12, vcc, v1, v8, vcc
	ds_read_b128 v[7:10], v0 offset:5440
	s_waitcnt lgkmcnt(1)
	global_store_dwordx4 v[11:12], v[3:6], off
	s_nop 0
	v_add_u32_e32 v3, 0x154, v70
	v_mov_b32_e32 v4, v71
	v_lshlrev_b64 v[3:4], 4, v[3:4]
	v_add_co_u32_e32 v3, vcc, v2, v3
	v_addc_co_u32_e32 v4, vcc, v1, v4, vcc
	s_waitcnt lgkmcnt(0)
	global_store_dwordx4 v[3:4], v[7:10], off
	ds_read_b128 v[3:6], v0 offset:6528
	v_add_u32_e32 v7, 0x198, v70
	v_mov_b32_e32 v8, v71
	v_lshlrev_b64 v[7:8], 4, v[7:8]
	v_add_co_u32_e32 v11, vcc, v2, v7
	v_addc_co_u32_e32 v12, vcc, v1, v8, vcc
	ds_read_b128 v[7:10], v0 offset:7616
	s_waitcnt lgkmcnt(1)
	global_store_dwordx4 v[11:12], v[3:6], off
	s_nop 0
	v_add_u32_e32 v3, 0x1dc, v70
	v_mov_b32_e32 v4, v71
	v_lshlrev_b64 v[3:4], 4, v[3:4]
	v_add_co_u32_e32 v3, vcc, v2, v3
	v_addc_co_u32_e32 v4, vcc, v1, v4, vcc
	s_waitcnt lgkmcnt(0)
	global_store_dwordx4 v[3:4], v[7:10], off
	ds_read_b128 v[3:6], v0 offset:8704
	v_add_u32_e32 v7, 0x220, v70
	v_mov_b32_e32 v8, v71
	v_lshlrev_b64 v[7:8], 4, v[7:8]
	v_add_co_u32_e32 v11, vcc, v2, v7
	v_addc_co_u32_e32 v12, vcc, v1, v8, vcc
	ds_read_b128 v[7:10], v0 offset:9792
	s_waitcnt lgkmcnt(1)
	global_store_dwordx4 v[11:12], v[3:6], off
	s_nop 0
	v_add_u32_e32 v3, 0x264, v70
	v_mov_b32_e32 v4, v71
	v_lshlrev_b64 v[3:4], 4, v[3:4]
	v_add_co_u32_e32 v3, vcc, v2, v3
	v_addc_co_u32_e32 v4, vcc, v1, v4, vcc
	s_waitcnt lgkmcnt(0)
	global_store_dwordx4 v[3:4], v[7:10], off
	ds_read_b128 v[3:6], v0 offset:10880
	v_add_u32_e32 v7, 0x2a8, v70
	v_mov_b32_e32 v8, v71
	v_lshlrev_b64 v[7:8], 4, v[7:8]
	v_add_co_u32_e32 v11, vcc, v2, v7
	v_addc_co_u32_e32 v12, vcc, v1, v8, vcc
	ds_read_b128 v[7:10], v0 offset:11968
	s_waitcnt lgkmcnt(1)
	global_store_dwordx4 v[11:12], v[3:6], off
	s_nop 0
	v_add_u32_e32 v3, 0x2ec, v70
	v_mov_b32_e32 v4, v71
	v_lshlrev_b64 v[3:4], 4, v[3:4]
	v_add_co_u32_e32 v3, vcc, v2, v3
	v_addc_co_u32_e32 v4, vcc, v1, v4, vcc
	s_waitcnt lgkmcnt(0)
	global_store_dwordx4 v[3:4], v[7:10], off
	ds_read_b128 v[3:6], v0 offset:13056
	v_add_u32_e32 v7, 0x330, v70
	v_mov_b32_e32 v8, v71
	v_lshlrev_b64 v[7:8], 4, v[7:8]
	v_add_co_u32_e32 v11, vcc, v2, v7
	v_addc_co_u32_e32 v12, vcc, v1, v8, vcc
	ds_read_b128 v[7:10], v0 offset:14144
	s_waitcnt lgkmcnt(1)
	global_store_dwordx4 v[11:12], v[3:6], off
	s_nop 0
	v_add_u32_e32 v3, 0x374, v70
	v_mov_b32_e32 v4, v71
	v_lshlrev_b64 v[3:4], 4, v[3:4]
	v_add_co_u32_e32 v3, vcc, v2, v3
	v_addc_co_u32_e32 v4, vcc, v1, v4, vcc
	s_waitcnt lgkmcnt(0)
	global_store_dwordx4 v[3:4], v[7:10], off
	ds_read_b128 v[3:6], v0 offset:15232
	v_add_u32_e32 v7, 0x3b8, v70
	v_mov_b32_e32 v8, v71
	v_lshlrev_b64 v[7:8], 4, v[7:8]
	v_add_co_u32_e32 v11, vcc, v2, v7
	v_addc_co_u32_e32 v12, vcc, v1, v8, vcc
	ds_read_b128 v[7:10], v0 offset:16320
	s_waitcnt lgkmcnt(1)
	global_store_dwordx4 v[11:12], v[3:6], off
	s_nop 0
	v_add_u32_e32 v3, 0x3fc, v70
	v_mov_b32_e32 v4, v71
	v_lshlrev_b64 v[3:4], 4, v[3:4]
	v_add_co_u32_e32 v3, vcc, v2, v3
	v_addc_co_u32_e32 v4, vcc, v1, v4, vcc
	v_cmp_eq_u32_e32 vcc, s0, v70
	s_waitcnt lgkmcnt(0)
	global_store_dwordx4 v[3:4], v[7:10], off
	s_and_b64 exec, exec, vcc
	s_cbranch_execz .LBB0_21
; %bb.20:
	ds_read_b128 v[3:6], v0 offset:16336
	v_add_co_u32_e32 v0, vcc, 0x4000, v2
	v_addc_co_u32_e32 v1, vcc, 0, v1, vcc
	s_waitcnt lgkmcnt(0)
	global_store_dwordx4 v[0:1], v[3:6], off offset:1024
.LBB0_21:
	s_endpgm
	.section	.rodata,"a",@progbits
	.p2align	6, 0x0
	.amdhsa_kernel fft_rtc_back_len1088_factors_17_4_4_2_2_wgs_204_tpt_68_halfLds_dp_op_CI_CI_unitstride_sbrr_R2C_dirReg
		.amdhsa_group_segment_fixed_size 0
		.amdhsa_private_segment_fixed_size 0
		.amdhsa_kernarg_size 104
		.amdhsa_user_sgpr_count 6
		.amdhsa_user_sgpr_private_segment_buffer 1
		.amdhsa_user_sgpr_dispatch_ptr 0
		.amdhsa_user_sgpr_queue_ptr 0
		.amdhsa_user_sgpr_kernarg_segment_ptr 1
		.amdhsa_user_sgpr_dispatch_id 0
		.amdhsa_user_sgpr_flat_scratch_init 0
		.amdhsa_user_sgpr_private_segment_size 0
		.amdhsa_uses_dynamic_stack 0
		.amdhsa_system_sgpr_private_segment_wavefront_offset 0
		.amdhsa_system_sgpr_workgroup_id_x 1
		.amdhsa_system_sgpr_workgroup_id_y 0
		.amdhsa_system_sgpr_workgroup_id_z 0
		.amdhsa_system_sgpr_workgroup_info 0
		.amdhsa_system_vgpr_workitem_id 0
		.amdhsa_next_free_vgpr 166
		.amdhsa_next_free_sgpr 58
		.amdhsa_reserve_vcc 1
		.amdhsa_reserve_flat_scratch 0
		.amdhsa_float_round_mode_32 0
		.amdhsa_float_round_mode_16_64 0
		.amdhsa_float_denorm_mode_32 3
		.amdhsa_float_denorm_mode_16_64 3
		.amdhsa_dx10_clamp 1
		.amdhsa_ieee_mode 1
		.amdhsa_fp16_overflow 0
		.amdhsa_exception_fp_ieee_invalid_op 0
		.amdhsa_exception_fp_denorm_src 0
		.amdhsa_exception_fp_ieee_div_zero 0
		.amdhsa_exception_fp_ieee_overflow 0
		.amdhsa_exception_fp_ieee_underflow 0
		.amdhsa_exception_fp_ieee_inexact 0
		.amdhsa_exception_int_div_zero 0
	.end_amdhsa_kernel
	.text
.Lfunc_end0:
	.size	fft_rtc_back_len1088_factors_17_4_4_2_2_wgs_204_tpt_68_halfLds_dp_op_CI_CI_unitstride_sbrr_R2C_dirReg, .Lfunc_end0-fft_rtc_back_len1088_factors_17_4_4_2_2_wgs_204_tpt_68_halfLds_dp_op_CI_CI_unitstride_sbrr_R2C_dirReg
                                        ; -- End function
	.section	.AMDGPU.csdata,"",@progbits
; Kernel info:
; codeLenInByte = 15204
; NumSgprs: 62
; NumVgprs: 166
; ScratchSize: 0
; MemoryBound: 0
; FloatMode: 240
; IeeeMode: 1
; LDSByteSize: 0 bytes/workgroup (compile time only)
; SGPRBlocks: 7
; VGPRBlocks: 41
; NumSGPRsForWavesPerEU: 62
; NumVGPRsForWavesPerEU: 166
; Occupancy: 1
; WaveLimiterHint : 1
; COMPUTE_PGM_RSRC2:SCRATCH_EN: 0
; COMPUTE_PGM_RSRC2:USER_SGPR: 6
; COMPUTE_PGM_RSRC2:TRAP_HANDLER: 0
; COMPUTE_PGM_RSRC2:TGID_X_EN: 1
; COMPUTE_PGM_RSRC2:TGID_Y_EN: 0
; COMPUTE_PGM_RSRC2:TGID_Z_EN: 0
; COMPUTE_PGM_RSRC2:TIDIG_COMP_CNT: 0
	.type	__hip_cuid_49f198c11b0c9f8c,@object ; @__hip_cuid_49f198c11b0c9f8c
	.section	.bss,"aw",@nobits
	.globl	__hip_cuid_49f198c11b0c9f8c
__hip_cuid_49f198c11b0c9f8c:
	.byte	0                               ; 0x0
	.size	__hip_cuid_49f198c11b0c9f8c, 1

	.ident	"AMD clang version 19.0.0git (https://github.com/RadeonOpenCompute/llvm-project roc-6.4.0 25133 c7fe45cf4b819c5991fe208aaa96edf142730f1d)"
	.section	".note.GNU-stack","",@progbits
	.addrsig
	.addrsig_sym __hip_cuid_49f198c11b0c9f8c
	.amdgpu_metadata
---
amdhsa.kernels:
  - .args:
      - .actual_access:  read_only
        .address_space:  global
        .offset:         0
        .size:           8
        .value_kind:     global_buffer
      - .offset:         8
        .size:           8
        .value_kind:     by_value
      - .actual_access:  read_only
        .address_space:  global
        .offset:         16
        .size:           8
        .value_kind:     global_buffer
      - .actual_access:  read_only
        .address_space:  global
        .offset:         24
        .size:           8
        .value_kind:     global_buffer
      - .actual_access:  read_only
        .address_space:  global
        .offset:         32
        .size:           8
        .value_kind:     global_buffer
      - .offset:         40
        .size:           8
        .value_kind:     by_value
      - .actual_access:  read_only
        .address_space:  global
        .offset:         48
        .size:           8
        .value_kind:     global_buffer
      - .actual_access:  read_only
        .address_space:  global
        .offset:         56
        .size:           8
        .value_kind:     global_buffer
      - .offset:         64
        .size:           4
        .value_kind:     by_value
      - .actual_access:  read_only
        .address_space:  global
        .offset:         72
        .size:           8
        .value_kind:     global_buffer
      - .actual_access:  read_only
        .address_space:  global
        .offset:         80
        .size:           8
        .value_kind:     global_buffer
      - .actual_access:  read_only
        .address_space:  global
        .offset:         88
        .size:           8
        .value_kind:     global_buffer
      - .actual_access:  write_only
        .address_space:  global
        .offset:         96
        .size:           8
        .value_kind:     global_buffer
    .group_segment_fixed_size: 0
    .kernarg_segment_align: 8
    .kernarg_segment_size: 104
    .language:       OpenCL C
    .language_version:
      - 2
      - 0
    .max_flat_workgroup_size: 204
    .name:           fft_rtc_back_len1088_factors_17_4_4_2_2_wgs_204_tpt_68_halfLds_dp_op_CI_CI_unitstride_sbrr_R2C_dirReg
    .private_segment_fixed_size: 0
    .sgpr_count:     62
    .sgpr_spill_count: 0
    .symbol:         fft_rtc_back_len1088_factors_17_4_4_2_2_wgs_204_tpt_68_halfLds_dp_op_CI_CI_unitstride_sbrr_R2C_dirReg.kd
    .uniform_work_group_size: 1
    .uses_dynamic_stack: false
    .vgpr_count:     166
    .vgpr_spill_count: 0
    .wavefront_size: 64
amdhsa.target:   amdgcn-amd-amdhsa--gfx906
amdhsa.version:
  - 1
  - 2
...

	.end_amdgpu_metadata
